;; amdgpu-corpus repo=ROCm/rocFFT kind=compiled arch=gfx906 opt=O3
	.text
	.amdgcn_target "amdgcn-amd-amdhsa--gfx906"
	.amdhsa_code_object_version 6
	.protected	bluestein_single_back_len2430_dim1_sp_op_CI_CI ; -- Begin function bluestein_single_back_len2430_dim1_sp_op_CI_CI
	.globl	bluestein_single_back_len2430_dim1_sp_op_CI_CI
	.p2align	8
	.type	bluestein_single_back_len2430_dim1_sp_op_CI_CI,@function
bluestein_single_back_len2430_dim1_sp_op_CI_CI: ; @bluestein_single_back_len2430_dim1_sp_op_CI_CI
; %bb.0:
	s_load_dwordx4 s[12:15], s[4:5], 0x28
	s_mov_b64 s[26:27], s[2:3]
	v_mul_u32_u24_e32 v3, 0x32a, v0
	s_mov_b64 s[24:25], s[0:1]
	v_add_u32_sdwa v1, s6, v3 dst_sel:DWORD dst_unused:UNUSED_PAD src0_sel:DWORD src1_sel:WORD_1
	v_mov_b32_e32 v2, 0
	s_add_u32 s24, s24, s7
	s_waitcnt lgkmcnt(0)
	v_cmp_gt_u64_e32 vcc, s[12:13], v[1:2]
	s_addc_u32 s25, s25, 0
	s_movk_i32 s16, 0x32a
	s_and_saveexec_b64 s[0:1], vcc
	s_cbranch_execz .LBB0_2
; %bb.1:
	s_load_dwordx4 s[8:11], s[4:5], 0x0
	s_load_dwordx4 s[20:23], s[4:5], 0x18
	s_load_dwordx2 s[12:13], s[4:5], 0x38
	s_movk_i32 s17, 0x51
	v_mul_lo_u16_sdwa v2, v3, s17 dst_sel:DWORD dst_unused:UNUSED_PAD src0_sel:WORD_1 src1_sel:DWORD
	v_sub_u16_e32 v209, v0, v2
	s_waitcnt lgkmcnt(0)
	s_load_dwordx4 s[0:3], s[22:23], 0x0
	v_lshlrev_b32_e32 v247, 3, v209
	v_mov_b32_e32 v28, 0xffffbe30
	v_add_u32_e32 v217, 0x3000, v247
	v_add_u32_e32 v216, 0xc00, v247
	s_waitcnt lgkmcnt(0)
	v_mad_u64_u32 v[4:5], s[4:5], s2, v1, 0
	v_mov_b32_e32 v225, s11
	v_lshlrev_b32_e32 v181, 4, v209
	v_mov_b32_e32 v0, v5
	v_mad_u64_u32 v[2:3], s[2:3], s3, v1, v[0:1]
                                        ; kill: killed $sgpr8_sgpr9
	v_mov_b32_e32 v5, v2
	buffer_store_dword v4, off, s[24:27], 0 offset:192 ; 4-byte Folded Spill
	s_nop 0
	buffer_store_dword v5, off, s[24:27], 0 offset:196 ; 4-byte Folded Spill
	s_load_dwordx4 s[4:7], s[20:21], 0x0
	s_waitcnt lgkmcnt(0)
	v_mad_u64_u32 v[2:3], s[2:3], s6, v1, 0
	s_mul_i32 s6, s4, 0x798
	v_mov_b32_e32 v0, v3
	v_mad_u64_u32 v[0:1], s[2:3], s7, v1, v[0:1]
	s_movk_i32 s7, 0x2000
	v_mov_b32_e32 v3, v0
	v_mad_u64_u32 v[0:1], s[2:3], s4, v209, 0
	v_mad_u64_u32 v[4:5], s[2:3], s5, v209, v[1:2]
	v_lshlrev_b64 v[2:3], 3, v[2:3]
	s_movk_i32 s2, 0xf3
	v_mov_b32_e32 v1, v4
	v_add_co_u32_e32 v2, vcc, s14, v2
	v_mov_b32_e32 v4, s15
	v_lshlrev_b64 v[0:1], 3, v[0:1]
	v_addc_co_u32_e32 v3, vcc, v4, v3, vcc
	v_add_co_u32_e32 v0, vcc, v2, v0
	v_addc_co_u32_e32 v1, vcc, v3, v1, vcc
	v_add_co_u32_e32 v12, vcc, s8, v247
	v_mov_b32_e32 v4, s9
	v_addc_co_u32_e32 v245, vcc, 0, v4, vcc
	global_load_dwordx2 v[4:5], v247, s[8:9]
	global_load_dwordx2 v[2:3], v[0:1], off
	v_add_co_u32_e32 v220, vcc, s2, v209
	v_addc_co_u32_e64 v176, s[2:3], 0, 0, vcc
	s_mul_i32 s2, s5, 0x798
	s_mul_hi_u32 s3, s4, 0x798
	s_add_i32 s3, s3, s2
	v_add_co_u32_e32 v0, vcc, s6, v0
	s_movk_i32 s2, 0x1e6
	v_mov_b32_e32 v13, v12
	v_mov_b32_e32 v15, v13
	s_mulk_i32 s5, 0xbe30
	s_sub_i32 s5, s5, s4
	s_waitcnt vmcnt(1)
	buffer_store_dword v4, off, s[24:27], 0 offset:232 ; 4-byte Folded Spill
	s_nop 0
	buffer_store_dword v5, off, s[24:27], 0 offset:236 ; 4-byte Folded Spill
	s_waitcnt vmcnt(2)
	v_mul_f32_e32 v8, v3, v5
	v_fmac_f32_e32 v8, v2, v4
	v_mul_f32_e32 v2, v2, v5
	v_fma_f32 v9, v3, v4, -v2
	v_mov_b32_e32 v2, s3
	v_addc_co_u32_e32 v1, vcc, v1, v2, vcc
	global_load_dwordx2 v[2:3], v[0:1], off
	global_load_dwordx2 v[5:6], v247, s[8:9] offset:1944
	v_add_co_u32_e32 v249, vcc, s2, v209
	v_add_co_u32_e32 v0, vcc, s6, v0
	s_movk_i32 s2, 0x2d9
	s_waitcnt vmcnt(0)
	buffer_store_dword v5, off, s[24:27], 0 offset:224 ; 4-byte Folded Spill
	s_nop 0
	buffer_store_dword v6, off, s[24:27], 0 offset:228 ; 4-byte Folded Spill
	v_mul_f32_e32 v4, v3, v6
	v_fmac_f32_e32 v4, v2, v5
	v_mul_f32_e32 v2, v2, v6
	v_fma_f32 v5, v3, v5, -v2
	v_mov_b32_e32 v2, s3
	ds_write_b64 v247, v[4:5] offset:1944
	v_addc_co_u32_e32 v1, vcc, v1, v2, vcc
	global_load_dwordx2 v[2:3], v[0:1], off
	global_load_dwordx2 v[5:6], v247, s[8:9] offset:3888
	v_add_co_u32_e32 v248, vcc, s2, v209
	v_add_co_u32_e32 v0, vcc, s6, v0
	s_movk_i32 s2, 0x1000
	s_waitcnt vmcnt(0)
	buffer_store_dword v5, off, s[24:27], 0 offset:208 ; 4-byte Folded Spill
	s_nop 0
	buffer_store_dword v6, off, s[24:27], 0 offset:212 ; 4-byte Folded Spill
	v_mul_f32_e32 v4, v3, v6
	v_fmac_f32_e32 v4, v2, v5
	v_mul_f32_e32 v2, v2, v6
	v_fma_f32 v5, v3, v5, -v2
	v_mov_b32_e32 v2, s3
	v_addc_co_u32_e32 v1, vcc, v1, v2, vcc
	v_add_co_u32_e32 v6, vcc, s2, v12
	v_addc_co_u32_e32 v7, vcc, 0, v245, vcc
	global_load_dwordx2 v[10:11], v[6:7], off offset:1736
	global_load_dwordx2 v[2:3], v[0:1], off
	ds_write_b64 v247, v[4:5] offset:3888
	v_add_co_u32_e32 v0, vcc, s6, v0
                                        ; kill: killed $vgpr6 killed $vgpr7
	s_waitcnt vmcnt(1)
	buffer_store_dword v10, off, s[24:27], 0 offset:216 ; 4-byte Folded Spill
	s_nop 0
	buffer_store_dword v11, off, s[24:27], 0 offset:220 ; 4-byte Folded Spill
	s_waitcnt vmcnt(2)
	v_mul_f32_e32 v4, v3, v11
	v_fmac_f32_e32 v4, v2, v10
	v_mul_f32_e32 v2, v2, v11
	v_fma_f32 v5, v3, v10, -v2
	v_mov_b32_e32 v2, s3
	ds_write_b64 v247, v[4:5] offset:5832
	v_addc_co_u32_e32 v1, vcc, v1, v2, vcc
	global_load_dwordx2 v[2:3], v[0:1], off
	global_load_dwordx2 v[10:11], v[6:7], off offset:3680
	v_add_co_u32_e32 v0, vcc, s6, v0
	s_waitcnt vmcnt(0)
	buffer_store_dword v10, off, s[24:27], 0 offset:200 ; 4-byte Folded Spill
	s_nop 0
	buffer_store_dword v11, off, s[24:27], 0 offset:204 ; 4-byte Folded Spill
	v_mul_f32_e32 v4, v3, v11
	v_fmac_f32_e32 v4, v2, v10
	v_mul_f32_e32 v2, v2, v11
	v_fma_f32 v5, v3, v10, -v2
	v_mov_b32_e32 v2, s3
	v_addc_co_u32_e32 v1, vcc, v1, v2, vcc
	ds_write_b64 v247, v[4:5] offset:7776
	v_add_co_u32_e32 v4, vcc, s7, v12
	v_addc_co_u32_e32 v5, vcc, 0, v245, vcc
	global_load_dwordx2 v[11:12], v[4:5], off offset:1528
	global_load_dwordx2 v[2:3], v[0:1], off
	v_add_co_u32_e32 v0, vcc, s6, v0
	s_movk_i32 s7, 0x3000
                                        ; kill: killed $vgpr4 killed $vgpr5
	s_waitcnt vmcnt(1)
	buffer_store_dword v11, off, s[24:27], 0 offset:136 ; 4-byte Folded Spill
	s_nop 0
	buffer_store_dword v12, off, s[24:27], 0 offset:140 ; 4-byte Folded Spill
	s_waitcnt vmcnt(2)
	v_mul_f32_e32 v10, v3, v12
	v_fmac_f32_e32 v10, v2, v11
	v_mul_f32_e32 v2, v2, v12
	v_fma_f32 v11, v3, v11, -v2
	v_mov_b32_e32 v2, s3
	ds_write_b64 v247, v[10:11] offset:9720
	v_addc_co_u32_e32 v1, vcc, v1, v2, vcc
	global_load_dwordx2 v[2:3], v[0:1], off
	global_load_dwordx2 v[11:12], v[4:5], off offset:3472
	v_add_co_u32_e32 v0, vcc, s6, v0
	s_waitcnt vmcnt(0)
	buffer_store_dword v11, off, s[24:27], 0 offset:96 ; 4-byte Folded Spill
	s_nop 0
	buffer_store_dword v12, off, s[24:27], 0 offset:100 ; 4-byte Folded Spill
	buffer_store_dword v15, off, s[24:27], 0 offset:508 ; 4-byte Folded Spill
	v_mul_f32_e32 v10, v3, v12
	v_fmac_f32_e32 v10, v2, v11
	v_mul_f32_e32 v2, v2, v12
	v_fma_f32 v11, v3, v11, -v2
	v_mov_b32_e32 v2, s3
	v_addc_co_u32_e32 v1, vcc, v1, v2, vcc
	v_add_co_u32_e32 v2, vcc, s7, v15
	v_addc_co_u32_e32 v3, vcc, 0, v245, vcc
	global_load_dwordx2 v[13:14], v[2:3], off offset:1320
	ds_write_b64 v247, v[10:11] offset:11664
	global_load_dwordx2 v[10:11], v[0:1], off
	v_add_co_u32_e32 v0, vcc, s6, v0
	s_movk_i32 s7, 0x4000
                                        ; kill: killed $vgpr2 killed $vgpr3
	s_waitcnt vmcnt(1)
	buffer_store_dword v13, off, s[24:27], 0 offset:80 ; 4-byte Folded Spill
	s_nop 0
	buffer_store_dword v14, off, s[24:27], 0 offset:84 ; 4-byte Folded Spill
	s_waitcnt vmcnt(2)
	v_mul_f32_e32 v12, v11, v14
	v_fmac_f32_e32 v12, v10, v13
	v_mul_f32_e32 v10, v10, v14
	v_fma_f32 v13, v11, v13, -v10
	v_mov_b32_e32 v10, s3
	ds_write_b64 v247, v[12:13] offset:13608
	v_addc_co_u32_e32 v1, vcc, v1, v10, vcc
	global_load_dwordx2 v[10:11], v[0:1], off
	global_load_dwordx2 v[13:14], v[2:3], off offset:3264
	v_add_co_u32_e32 v0, vcc, s6, v0
	s_waitcnt vmcnt(0)
	buffer_store_dword v13, off, s[24:27], 0 offset:56 ; 4-byte Folded Spill
	s_nop 0
	buffer_store_dword v14, off, s[24:27], 0 offset:60 ; 4-byte Folded Spill
	v_mul_f32_e32 v12, v11, v14
	v_fmac_f32_e32 v12, v10, v13
	v_mul_f32_e32 v10, v10, v14
	v_fma_f32 v13, v11, v13, -v10
	v_mov_b32_e32 v10, s3
	v_addc_co_u32_e32 v1, vcc, v1, v10, vcc
	v_add_co_u32_e32 v15, vcc, s7, v15
	v_addc_co_u32_e32 v16, vcc, 0, v245, vcc
	ds_write_b64 v247, v[12:13] offset:15552
	global_load_dwordx2 v[13:14], v[15:16], off offset:1112
	global_load_dwordx2 v[10:11], v[0:1], off
	v_add_co_u32_e32 v177, vcc, s17, v209
	s_movk_i32 s7, 0x144
	v_addc_co_u32_e64 v136, s[14:15], 0, 0, vcc
	v_add_co_u32_e32 v218, vcc, s7, v209
	s_movk_i32 s7, 0x237
	v_mov_b32_e32 v34, v16
	v_mov_b32_e32 v33, v15
	s_waitcnt vmcnt(1)
	buffer_store_dword v13, off, s[24:27], 0 offset:40 ; 4-byte Folded Spill
	s_nop 0
	buffer_store_dword v14, off, s[24:27], 0 offset:44 ; 4-byte Folded Spill
	s_waitcnt vmcnt(2)
	v_mul_f32_e32 v12, v11, v14
	v_fmac_f32_e32 v12, v10, v13
	v_mul_f32_e32 v10, v10, v14
	v_fma_f32 v13, v11, v13, -v10
	v_mov_b32_e32 v10, 0xffffbe30
	v_mad_u64_u32 v[0:1], s[14:15], s4, v10, v[0:1]
	ds_write_b64 v247, v[12:13] offset:17496
	v_add_u32_e32 v1, s5, v1
	global_load_dwordx2 v[10:11], v[0:1], off
	global_load_dwordx2 v[13:14], v247, s[8:9] offset:648
	v_add_co_u32_e32 v0, vcc, s6, v0
	s_waitcnt vmcnt(0)
	buffer_store_dword v13, off, s[24:27], 0 offset:144 ; 4-byte Folded Spill
	s_nop 0
	buffer_store_dword v14, off, s[24:27], 0 offset:148 ; 4-byte Folded Spill
	v_mul_f32_e32 v12, v11, v14
	v_fmac_f32_e32 v12, v10, v13
	v_mul_f32_e32 v10, v10, v14
	v_fma_f32 v13, v11, v13, -v10
	ds_write2_b64 v247, v[8:9], v[12:13] offset1:81
	v_mov_b32_e32 v8, s3
	v_addc_co_u32_e32 v1, vcc, v1, v8, vcc
	global_load_dwordx2 v[8:9], v[0:1], off
	global_load_dwordx2 v[10:11], v247, s[8:9] offset:2592
	v_add_co_u32_e32 v230, vcc, s7, v209
	v_add_co_u32_e32 v0, vcc, s6, v0
	s_movk_i32 s7, 0xa2
	s_waitcnt vmcnt(0)
	buffer_store_dword v10, off, s[24:27], 0 offset:112 ; 4-byte Folded Spill
	s_nop 0
	buffer_store_dword v11, off, s[24:27], 0 offset:116 ; 4-byte Folded Spill
	v_mul_f32_e32 v22, v9, v11
	v_fmac_f32_e32 v22, v8, v10
	v_mul_f32_e32 v8, v8, v11
	v_fma_f32 v23, v9, v10, -v8
	v_mov_b32_e32 v8, s3
	v_addc_co_u32_e32 v1, vcc, v1, v8, vcc
	global_load_dwordx2 v[8:9], v[0:1], off
	global_load_dwordx2 v[10:11], v[6:7], off offset:440
	v_add_co_u32_e32 v0, vcc, s6, v0
	s_waitcnt vmcnt(0)
	buffer_store_dword v10, off, s[24:27], 0 offset:88 ; 4-byte Folded Spill
	s_nop 0
	buffer_store_dword v11, off, s[24:27], 0 offset:92 ; 4-byte Folded Spill
	v_mul_f32_e32 v20, v9, v11
	v_fmac_f32_e32 v20, v8, v10
	v_mul_f32_e32 v8, v8, v11
	v_fma_f32 v21, v9, v10, -v8
	v_mov_b32_e32 v8, s3
	v_addc_co_u32_e32 v1, vcc, v1, v8, vcc
	global_load_dwordx2 v[8:9], v[0:1], off
	global_load_dwordx2 v[10:11], v[6:7], off offset:2384
	v_add_co_u32_e32 v0, vcc, s6, v0
	;; [unrolled: 13-line block ×6, first 2 shown]
	s_waitcnt vmcnt(0)
	buffer_store_dword v24, off, s[24:27], 0 offset:16 ; 4-byte Folded Spill
	s_nop 0
	buffer_store_dword v25, off, s[24:27], 0 offset:20 ; 4-byte Folded Spill
	v_mul_f32_e32 v10, v9, v25
	v_fmac_f32_e32 v10, v8, v24
	v_mul_f32_e32 v8, v8, v25
	v_fma_f32 v11, v9, v24, -v8
	v_mov_b32_e32 v8, s3
	v_addc_co_u32_e32 v1, vcc, v1, v8, vcc
	global_load_dwordx2 v[24:25], v[0:1], off
	global_load_dwordx2 v[26:27], v[2:3], off offset:3912
	s_waitcnt vmcnt(0)
	buffer_store_dword v26, off, s[24:27], 0 offset:8 ; 4-byte Folded Spill
	s_nop 0
	buffer_store_dword v27, off, s[24:27], 0 offset:12 ; 4-byte Folded Spill
	v_mul_f32_e32 v8, v25, v27
	v_fmac_f32_e32 v8, v24, v26
	v_mul_f32_e32 v9, v24, v27
	v_add_co_u32_e32 v24, vcc, s6, v0
	v_mov_b32_e32 v0, s3
	v_fma_f32 v9, v25, v26, -v9
	v_addc_co_u32_e32 v25, vcc, v1, v0, vcc
	global_load_dwordx2 v[26:27], v[24:25], off
	global_load_dwordx2 v[29:30], v[33:34], off offset:1760
	s_waitcnt vmcnt(0)
	buffer_store_dword v29, off, s[24:27], 0 ; 4-byte Folded Spill
	s_nop 0
	buffer_store_dword v30, off, s[24:27], 0 offset:4 ; 4-byte Folded Spill
	v_mad_u64_u32 v[24:25], s[14:15], s4, v28, v[24:25]
	s_movk_i32 s4, 0x195
	v_add_co_u32_e32 v178, vcc, s7, v209
	v_add_u32_e32 v25, s5, v25
	v_add_co_u32_e32 v251, vcc, s4, v209
	s_movk_i32 s4, 0x288
	v_mul_f32_e32 v0, v27, v30
	v_mul_f32_e32 v1, v26, v30
	v_fmac_f32_e32 v0, v26, v29
	v_fma_f32 v1, v27, v29, -v1
	global_load_dwordx2 v[26:27], v[24:25], off
	global_load_dwordx2 v[29:30], v247, s[8:9] offset:1296
	s_waitcnt vmcnt(0)
	buffer_store_dword v29, off, s[24:27], 0 offset:64 ; 4-byte Folded Spill
	s_nop 0
	buffer_store_dword v30, off, s[24:27], 0 offset:68 ; 4-byte Folded Spill
	v_add_co_u32_e32 v24, vcc, s6, v24
	v_mul_f32_e32 v28, v27, v30
	v_fmac_f32_e32 v28, v26, v29
	v_mul_f32_e32 v26, v26, v30
	v_fma_f32 v29, v27, v29, -v26
	v_mov_b32_e32 v26, s3
	ds_write_b64 v247, v[28:29] offset:1296
	v_addc_co_u32_e32 v25, vcc, v25, v26, vcc
	global_load_dwordx2 v[26:27], v[24:25], off
	global_load_dwordx2 v[29:30], v247, s[8:9] offset:3240
	s_waitcnt vmcnt(0)
	buffer_store_dword v29, off, s[24:27], 0 offset:104 ; 4-byte Folded Spill
	s_nop 0
	buffer_store_dword v30, off, s[24:27], 0 offset:108 ; 4-byte Folded Spill
	v_add_co_u32_e32 v250, vcc, s4, v209
	v_mul_f32_e32 v28, v27, v30
	v_fmac_f32_e32 v28, v26, v29
	v_mul_f32_e32 v26, v26, v30
	v_fma_f32 v29, v27, v29, -v26
	v_add_u32_e32 v26, 0x800, v247
	ds_write2_b64 v26, v[22:23], v[28:29] offset0:68 offset1:149
	v_add_co_u32_e32 v22, vcc, s6, v24
	v_mov_b32_e32 v23, s3
	v_addc_co_u32_e32 v23, vcc, v25, v23, vcc
	global_load_dwordx2 v[24:25], v[22:23], off
	global_load_dwordx2 v[27:28], v[6:7], off offset:1088
	s_waitcnt vmcnt(0)
	buffer_store_dword v27, off, s[24:27], 0 offset:120 ; 4-byte Folded Spill
	s_nop 0
	buffer_store_dword v28, off, s[24:27], 0 offset:124 ; 4-byte Folded Spill
	v_mov_b32_e32 v234, v26
	v_mul_f32_e32 v26, v25, v28
	v_fmac_f32_e32 v26, v24, v27
	v_mul_f32_e32 v24, v24, v28
	v_fma_f32 v27, v25, v27, -v24
	v_add_u32_e32 v24, 0x1000, v247
	ds_write2_b64 v24, v[20:21], v[26:27] offset0:55 offset1:136
	v_add_co_u32_e32 v20, vcc, s6, v22
	v_mov_b32_e32 v21, s3
	v_addc_co_u32_e32 v21, vcc, v23, v21, vcc
	v_mov_b32_e32 v252, v24
	global_load_dwordx2 v[22:23], v[20:21], off
	global_load_dwordx2 v[24:25], v[6:7], off offset:3032
	s_waitcnt vmcnt(0)
	buffer_store_dword v24, off, s[24:27], 0 offset:160 ; 4-byte Folded Spill
	s_nop 0
	buffer_store_dword v25, off, s[24:27], 0 offset:164 ; 4-byte Folded Spill
	v_mul_f32_e32 v6, v23, v25
	v_mul_f32_e32 v7, v22, v25
	v_fmac_f32_e32 v6, v22, v24
	v_fma_f32 v7, v23, v24, -v7
	v_add_u32_e32 v22, 0x1800, v247
	ds_write2_b64 v22, v[18:19], v[6:7] offset0:42 offset1:123
	v_add_co_u32_e32 v6, vcc, s6, v20
	v_mov_b32_e32 v7, s3
	v_addc_co_u32_e32 v7, vcc, v21, v7, vcc
	v_mov_b32_e32 v223, v22
	global_load_dwordx2 v[18:19], v[6:7], off
	global_load_dwordx2 v[21:22], v[4:5], off offset:880
	s_waitcnt vmcnt(0)
	buffer_store_dword v21, off, s[24:27], 0 offset:152 ; 4-byte Folded Spill
	s_nop 0
	buffer_store_dword v22, off, s[24:27], 0 offset:156 ; 4-byte Folded Spill
	v_add_co_u32_e32 v6, vcc, s6, v6
	v_mul_f32_e32 v20, v19, v22
	v_fmac_f32_e32 v20, v18, v21
	v_mul_f32_e32 v18, v18, v22
	v_fma_f32 v21, v19, v21, -v18
	v_add_u32_e32 v18, 0x2000, v247
	ds_write2_b64 v18, v[16:17], v[20:21] offset0:29 offset1:110
	v_mov_b32_e32 v16, s3
	v_addc_co_u32_e32 v7, vcc, v7, v16, vcc
	v_mov_b32_e32 v233, v18
	global_load_dwordx2 v[16:17], v[6:7], off
	global_load_dwordx2 v[18:19], v[4:5], off offset:2824
	s_waitcnt vmcnt(0)
	buffer_store_dword v18, off, s[24:27], 0 offset:168 ; 4-byte Folded Spill
	s_nop 0
	buffer_store_dword v19, off, s[24:27], 0 offset:172 ; 4-byte Folded Spill
	v_mul_f32_e32 v4, v17, v19
	v_mul_f32_e32 v5, v16, v19
	v_fmac_f32_e32 v4, v16, v18
	v_fma_f32 v5, v17, v18, -v5
	v_add_u32_e32 v16, 0x2800, v247
	ds_write2_b64 v16, v[14:15], v[4:5] offset0:16 offset1:97
	v_add_co_u32_e32 v4, vcc, s6, v6
	v_mov_b32_e32 v5, s3
	v_addc_co_u32_e32 v5, vcc, v7, v5, vcc
	v_mov_b32_e32 v232, v16
	global_load_dwordx2 v[6:7], v[4:5], off
	global_load_dwordx2 v[15:16], v[2:3], off offset:672
	s_waitcnt vmcnt(0)
	buffer_store_dword v15, off, s[24:27], 0 offset:176 ; 4-byte Folded Spill
	s_nop 0
	buffer_store_dword v16, off, s[24:27], 0 offset:180 ; 4-byte Folded Spill
	v_add_co_u32_e32 v4, vcc, s6, v4
	v_mul_f32_e32 v14, v7, v16
	v_fmac_f32_e32 v14, v6, v15
	v_mul_f32_e32 v6, v6, v16
	v_fma_f32 v15, v7, v15, -v6
	v_mov_b32_e32 v6, s3
	ds_write2_b64 v217, v[12:13], v[14:15] offset0:3 offset1:84
	v_addc_co_u32_e32 v5, vcc, v5, v6, vcc
	global_load_dwordx2 v[6:7], v[4:5], off
	global_load_dwordx2 v[12:13], v[2:3], off offset:2616
	s_waitcnt vmcnt(0)
	buffer_store_dword v12, off, s[24:27], 0 offset:184 ; 4-byte Folded Spill
	s_nop 0
	buffer_store_dword v13, off, s[24:27], 0 offset:188 ; 4-byte Folded Spill
	v_mul_f32_e32 v2, v7, v13
	v_mul_f32_e32 v3, v6, v13
	v_fmac_f32_e32 v2, v6, v12
	v_fma_f32 v3, v7, v12, -v3
	v_add_u32_e32 v6, 0x3400, v247
	ds_write2_b64 v6, v[10:11], v[2:3] offset0:118 offset1:199
	v_add_co_u32_e32 v2, vcc, s6, v4
	v_mov_b32_e32 v3, s3
	v_addc_co_u32_e32 v3, vcc, v5, v3, vcc
	global_load_dwordx2 v[4:5], v[2:3], off
	s_nop 0
	buffer_store_dword v33, off, s[24:27], 0 offset:500 ; 4-byte Folded Spill
	s_nop 0
	buffer_store_dword v34, off, s[24:27], 0 offset:504 ; 4-byte Folded Spill
	v_mov_b32_e32 v32, v6
	v_add_co_u32_e32 v2, vcc, s6, v2
	v_mov_b32_e32 v131, v32
	global_load_dwordx2 v[10:11], v[33:34], off offset:464
	s_waitcnt vmcnt(0)
	buffer_store_dword v10, off, s[24:27], 0 offset:128 ; 4-byte Folded Spill
	s_nop 0
	buffer_store_dword v11, off, s[24:27], 0 offset:132 ; 4-byte Folded Spill
	v_mul_f32_e32 v6, v5, v11
	v_fmac_f32_e32 v6, v4, v10
	v_mul_f32_e32 v4, v4, v11
	v_fma_f32 v7, v5, v10, -v4
	v_add_u32_e32 v4, 0x3c00, v247
	ds_write2_b64 v4, v[8:9], v[6:7] offset0:105 offset1:186
	v_mov_b32_e32 v4, s3
	v_addc_co_u32_e32 v3, vcc, v3, v4, vcc
	global_load_dwordx2 v[4:5], v[2:3], off
	global_load_dwordx2 v[6:7], v[33:34], off offset:2408
	s_waitcnt vmcnt(0)
	buffer_store_dword v6, off, s[24:27], 0 offset:240 ; 4-byte Folded Spill
	s_nop 0
	buffer_store_dword v7, off, s[24:27], 0 offset:244 ; 4-byte Folded Spill
                                        ; kill: killed $vgpr2 killed $vgpr3
	s_movk_i32 s3, 0xcd
	v_mul_f32_e32 v2, v5, v7
	v_mul_f32_e32 v3, v4, v7
	v_fmac_f32_e32 v2, v4, v6
	v_fma_f32 v3, v5, v6, -v3
	v_add_u32_e32 v4, 0x4400, v247
	ds_write2_b64 v4, v[0:1], v[2:3] offset0:92 offset1:173
	v_add_u32_e32 v0, 0x1c00, v247
	s_waitcnt vmcnt(0) lgkmcnt(0)
	s_barrier
	ds_read2_b64 v[16:19], v247 offset1:81
	ds_read2_b64 v[12:15], v247 offset0:162 offset1:243
	ds_read2_b64 v[52:55], v216 offset0:102 offset1:183
	ds_read2_b64 v[64:67], v252 offset0:136 offset1:217
	ds_read2_b64 v[72:75], v0 offset0:76 offset1:157
	v_mov_b32_e32 v169, v0
	v_add_u32_e32 v0, 0x2c00, v247
	ds_read2_b64 v[20:23], v0 offset0:50 offset1:131
	v_mov_b32_e32 v168, v0
	v_add_u32_e32 v0, 0x3800, v247
	ds_read2_b64 v[48:51], v0 offset0:152 offset1:233
	v_mov_b32_e32 v78, v0
	s_waitcnt lgkmcnt(1)
	v_add_f32_e32 v1, v72, v20
	v_fma_f32 v1, -0.5, v1, v16
	v_add_u32_e32 v0, 0x4000, v247
	s_waitcnt lgkmcnt(0)
	v_sub_f32_e32 v2, v53, v49
	v_mov_b32_e32 v3, v1
	ds_read2_b64 v[68:71], v233 offset0:110 offset1:191
	ds_read2_b64 v[56:59], v217 offset0:84 offset1:165
	;; [unrolled: 1-line block ×8, first 2 shown]
	v_mov_b32_e32 v170, v4
	v_fmac_f32_e32 v3, 0x3f737871, v2
	v_sub_f32_e32 v4, v73, v21
	v_sub_f32_e32 v5, v52, v72
	;; [unrolled: 1-line block ×3, first 2 shown]
	v_fmac_f32_e32 v1, 0xbf737871, v2
	v_fmac_f32_e32 v3, 0x3f167918, v4
	v_add_f32_e32 v5, v5, v6
	v_fmac_f32_e32 v1, 0xbf167918, v4
	v_fmac_f32_e32 v3, 0x3e9e377a, v5
	;; [unrolled: 1-line block ×3, first 2 shown]
	v_add_f32_e32 v5, v52, v48
	v_fma_f32 v7, -0.5, v5, v16
	v_mov_b32_e32 v9, v7
	v_fmac_f32_e32 v9, 0xbf737871, v4
	v_fmac_f32_e32 v7, 0x3f737871, v4
	;; [unrolled: 1-line block ×4, first 2 shown]
	v_add_f32_e32 v2, v17, v53
	v_add_f32_e32 v2, v2, v73
	v_mov_b32_e32 v167, v0
	v_add_f32_e32 v0, v16, v52
	v_add_f32_e32 v2, v2, v21
	;; [unrolled: 1-line block ×6, first 2 shown]
	v_sub_f32_e32 v5, v72, v52
	v_sub_f32_e32 v6, v20, v48
	v_fma_f32 v76, -0.5, v2, v17
	v_add_f32_e32 v0, v0, v48
	v_add_f32_e32 v5, v5, v6
	v_sub_f32_e32 v2, v52, v48
	v_mov_b32_e32 v48, v76
	v_fmac_f32_e32 v9, 0x3e9e377a, v5
	v_fmac_f32_e32 v7, 0x3e9e377a, v5
	;; [unrolled: 1-line block ×3, first 2 shown]
	v_sub_f32_e32 v4, v72, v20
	v_sub_f32_e32 v5, v53, v73
	;; [unrolled: 1-line block ×3, first 2 shown]
	v_fmac_f32_e32 v76, 0x3f737871, v2
	v_fmac_f32_e32 v48, 0xbf167918, v4
	v_add_f32_e32 v5, v5, v6
	v_fmac_f32_e32 v76, 0x3f167918, v4
	v_fmac_f32_e32 v48, 0x3e9e377a, v5
	v_fmac_f32_e32 v76, 0x3e9e377a, v5
	v_add_f32_e32 v5, v53, v49
	v_fma_f32 v20, -0.5, v5, v17
	v_mov_b32_e32 v52, v20
	v_fmac_f32_e32 v52, 0x3f737871, v4
	v_sub_f32_e32 v5, v73, v53
	v_sub_f32_e32 v6, v21, v49
	v_fmac_f32_e32 v20, 0xbf737871, v4
	v_fmac_f32_e32 v52, 0xbf167918, v2
	v_add_f32_e32 v5, v5, v6
	v_fmac_f32_e32 v20, 0x3f167918, v2
	s_waitcnt lgkmcnt(6)
	v_add_f32_e32 v4, v70, v58
	v_fmac_f32_e32 v52, 0x3e9e377a, v5
	v_fmac_f32_e32 v20, 0x3e9e377a, v5
	v_fma_f32 v5, -0.5, v4, v14
	s_waitcnt lgkmcnt(5)
	v_sub_f32_e32 v4, v67, v63
	v_mov_b32_e32 v6, v5
	v_fmac_f32_e32 v6, 0x3f737871, v4
	v_sub_f32_e32 v8, v71, v59
	v_sub_f32_e32 v10, v66, v70
	;; [unrolled: 1-line block ×3, first 2 shown]
	v_fmac_f32_e32 v5, 0xbf737871, v4
	v_fmac_f32_e32 v6, 0x3f167918, v8
	v_add_f32_e32 v10, v10, v16
	v_fmac_f32_e32 v5, 0xbf167918, v8
	v_fmac_f32_e32 v6, 0x3e9e377a, v10
	;; [unrolled: 1-line block ×3, first 2 shown]
	v_add_f32_e32 v10, v66, v62
	v_fma_f32 v10, -0.5, v10, v14
	v_mov_b32_e32 v17, v10
	v_fmac_f32_e32 v17, 0xbf737871, v8
	v_fmac_f32_e32 v10, 0x3f737871, v8
	;; [unrolled: 1-line block ×4, first 2 shown]
	v_add_f32_e32 v4, v15, v67
	v_add_f32_e32 v4, v4, v71
	;; [unrolled: 1-line block ×6, first 2 shown]
	v_sub_f32_e32 v14, v70, v66
	v_sub_f32_e32 v16, v58, v62
	v_fma_f32 v8, -0.5, v4, v15
	v_add_f32_e32 v14, v14, v16
	v_sub_f32_e32 v4, v66, v62
	v_mov_b32_e32 v39, v8
	v_fmac_f32_e32 v17, 0x3e9e377a, v14
	v_fmac_f32_e32 v10, 0x3e9e377a, v14
	;; [unrolled: 1-line block ×3, first 2 shown]
	v_sub_f32_e32 v14, v70, v58
	v_sub_f32_e32 v16, v67, v71
	;; [unrolled: 1-line block ×3, first 2 shown]
	v_fmac_f32_e32 v8, 0x3f737871, v4
	v_fmac_f32_e32 v39, 0xbf167918, v14
	v_add_f32_e32 v16, v16, v36
	v_fmac_f32_e32 v8, 0x3f167918, v14
	v_fmac_f32_e32 v39, 0x3e9e377a, v16
	;; [unrolled: 1-line block ×3, first 2 shown]
	v_add_f32_e32 v16, v67, v63
	v_fma_f32 v49, -0.5, v16, v15
	v_mov_b32_e32 v15, v49
	v_sub_f32_e32 v16, v71, v67
	v_sub_f32_e32 v36, v59, v63
	v_fmac_f32_e32 v49, 0xbf737871, v14
	v_add_f32_e32 v2, v2, v70
	v_fmac_f32_e32 v15, 0x3f737871, v14
	v_add_f32_e32 v16, v16, v36
	;; [unrolled: 2-line block ×3, first 2 shown]
	v_fmac_f32_e32 v15, 0xbf167918, v4
	v_fmac_f32_e32 v49, 0x3e9e377a, v16
	v_mul_f32_e32 v59, 0xbe9e377a, v10
	v_add_f32_e32 v2, v2, v62
	v_fmac_f32_e32 v15, 0x3e9e377a, v16
	v_fmac_f32_e32 v59, 0x3f737871, v49
	v_add_f32_e32 v36, v0, v2
	v_mul_f32_e32 v53, 0x3f4f1bbd, v6
	v_mul_f32_e32 v58, 0x3f737871, v15
	v_add_f32_e32 v16, v7, v59
	v_add_f32_e32 v37, v11, v21
	v_mul_f32_e32 v63, 0xbf167918, v6
	v_sub_f32_e32 v6, v0, v2
	v_sub_f32_e32 v0, v7, v59
	;; [unrolled: 1-line block ×3, first 2 shown]
	v_add_f32_e32 v21, v74, v22
	v_fmac_f32_e32 v58, 0x3e9e377a, v17
	v_mul_f32_e32 v62, 0xbf4f1bbd, v5
	v_fmac_f32_e32 v63, 0x3f4f1bbd, v39
	v_mul_f32_e32 v66, 0xbf737871, v17
	v_mul_f32_e32 v49, 0xbe9e377a, v49
	v_fma_f32 v21, -0.5, v21, v18
	v_fmac_f32_e32 v53, 0x3f167918, v39
	v_add_f32_e32 v14, v9, v58
	v_fmac_f32_e32 v62, 0x3f167918, v8
	v_add_f32_e32 v39, v48, v63
	v_fmac_f32_e32 v66, 0x3e9e377a, v15
	v_fmac_f32_e32 v49, 0xbf737871, v10
	v_sub_f32_e32 v10, v9, v58
	v_sub_f32_e32 v9, v48, v63
	;; [unrolled: 1-line block ×3, first 2 shown]
	v_mov_b32_e32 v58, v21
	v_add_f32_e32 v38, v3, v53
	v_add_f32_e32 v4, v1, v62
	;; [unrolled: 1-line block ×4, first 2 shown]
	v_mul_f32_e32 v67, 0xbf4f1bbd, v8
	v_sub_f32_e32 v8, v3, v53
	v_sub_f32_e32 v2, v1, v62
	;; [unrolled: 1-line block ×4, first 2 shown]
	v_fmac_f32_e32 v58, 0x3f737871, v48
	v_sub_f32_e32 v49, v75, v23
	v_sub_f32_e32 v52, v54, v74
	;; [unrolled: 1-line block ×3, first 2 shown]
	v_fmac_f32_e32 v21, 0xbf737871, v48
	v_fmac_f32_e32 v58, 0x3f167918, v49
	v_add_f32_e32 v52, v52, v53
	v_fmac_f32_e32 v21, 0xbf167918, v49
	v_fmac_f32_e32 v58, 0x3e9e377a, v52
	;; [unrolled: 1-line block ×3, first 2 shown]
	v_add_f32_e32 v52, v54, v50
	v_add_f32_e32 v20, v18, v54
	v_fma_f32 v18, -0.5, v52, v18
	v_mov_b32_e32 v59, v18
	v_fmac_f32_e32 v59, 0xbf737871, v49
	v_fmac_f32_e32 v18, 0x3f737871, v49
	;; [unrolled: 1-line block ×4, first 2 shown]
	v_add_f32_e32 v48, v19, v55
	v_add_f32_e32 v48, v48, v75
	;; [unrolled: 1-line block ×6, first 2 shown]
	v_fma_f32 v63, -0.5, v48, v19
	v_add_f32_e32 v20, v20, v22
	v_sub_f32_e32 v48, v54, v50
	v_mov_b32_e32 v66, v63
	v_add_f32_e32 v20, v20, v50
	v_sub_f32_e32 v53, v22, v50
	v_fmac_f32_e32 v66, 0xbf737871, v48
	v_sub_f32_e32 v22, v74, v22
	v_sub_f32_e32 v49, v55, v75
	;; [unrolled: 1-line block ×3, first 2 shown]
	v_fmac_f32_e32 v63, 0x3f737871, v48
	v_fmac_f32_e32 v66, 0xbf167918, v22
	v_add_f32_e32 v49, v49, v50
	v_fmac_f32_e32 v63, 0x3f167918, v22
	v_fmac_f32_e32 v66, 0x3e9e377a, v49
	;; [unrolled: 1-line block ×3, first 2 shown]
	v_add_f32_e32 v49, v55, v51
	v_fmac_f32_e32 v67, 0xbf167918, v5
	v_fmac_f32_e32 v19, -0.5, v49
	v_add_f32_e32 v5, v76, v67
	v_sub_f32_e32 v3, v76, v67
	v_mov_b32_e32 v67, v19
	v_fmac_f32_e32 v67, 0x3f737871, v22
	v_sub_f32_e32 v49, v75, v55
	v_sub_f32_e32 v23, v23, v51
	v_fmac_f32_e32 v19, 0xbf737871, v22
	v_fmac_f32_e32 v67, 0xbf167918, v48
	v_add_f32_e32 v23, v49, v23
	v_fmac_f32_e32 v19, 0x3f167918, v48
	v_fmac_f32_e32 v67, 0x3e9e377a, v23
	;; [unrolled: 1-line block ×3, first 2 shown]
	s_waitcnt lgkmcnt(1)
	v_add_f32_e32 v23, v44, v28
	v_sub_f32_e32 v52, v74, v54
	v_fma_f32 v23, -0.5, v23, v24
	v_add_f32_e32 v52, v52, v53
	s_waitcnt lgkmcnt(0)
	v_sub_f32_e32 v48, v41, v33
	v_mov_b32_e32 v49, v23
	v_fmac_f32_e32 v59, 0x3e9e377a, v52
	v_fmac_f32_e32 v18, 0x3e9e377a, v52
	;; [unrolled: 1-line block ×3, first 2 shown]
	v_sub_f32_e32 v50, v45, v29
	v_sub_f32_e32 v51, v40, v44
	;; [unrolled: 1-line block ×3, first 2 shown]
	v_fmac_f32_e32 v23, 0xbf737871, v48
	v_fmac_f32_e32 v49, 0x3f167918, v50
	v_add_f32_e32 v51, v51, v52
	v_fmac_f32_e32 v23, 0xbf167918, v50
	v_fmac_f32_e32 v49, 0x3e9e377a, v51
	;; [unrolled: 1-line block ×3, first 2 shown]
	v_add_f32_e32 v51, v40, v32
	v_add_f32_e32 v22, v24, v40
	v_fma_f32 v24, -0.5, v51, v24
	v_mov_b32_e32 v51, v24
	v_fmac_f32_e32 v51, 0xbf737871, v50
	v_fmac_f32_e32 v24, 0x3f737871, v50
	;; [unrolled: 1-line block ×4, first 2 shown]
	v_add_f32_e32 v48, v25, v41
	v_add_f32_e32 v48, v48, v45
	;; [unrolled: 1-line block ×7, first 2 shown]
	v_fma_f32 v50, -0.5, v48, v25
	v_add_f32_e32 v22, v22, v32
	v_sub_f32_e32 v52, v44, v40
	v_sub_f32_e32 v53, v28, v32
	;; [unrolled: 1-line block ×3, first 2 shown]
	v_mov_b32_e32 v40, v50
	v_fmac_f32_e32 v40, 0xbf737871, v32
	v_sub_f32_e32 v28, v44, v28
	v_sub_f32_e32 v44, v41, v45
	;; [unrolled: 1-line block ×3, first 2 shown]
	v_fmac_f32_e32 v50, 0x3f737871, v32
	v_fmac_f32_e32 v40, 0xbf167918, v28
	v_add_f32_e32 v44, v44, v48
	v_fmac_f32_e32 v50, 0x3f167918, v28
	v_fmac_f32_e32 v40, 0x3e9e377a, v44
	;; [unrolled: 1-line block ×3, first 2 shown]
	v_add_f32_e32 v44, v41, v33
	v_fma_f32 v25, -0.5, v44, v25
	v_mov_b32_e32 v44, v25
	v_add_f32_e32 v52, v52, v53
	v_fmac_f32_e32 v44, 0x3f737871, v28
	v_sub_f32_e32 v41, v45, v41
	v_sub_f32_e32 v29, v29, v33
	v_fmac_f32_e32 v25, 0xbf737871, v28
	v_mul_f32_e32 v28, 0x3f4f1bbd, v49
	v_fmac_f32_e32 v51, 0x3e9e377a, v52
	v_fmac_f32_e32 v44, 0xbf167918, v32
	v_add_f32_e32 v29, v41, v29
	v_fmac_f32_e32 v25, 0x3f167918, v32
	v_fmac_f32_e32 v28, 0x3f167918, v40
	v_mul_f32_e32 v33, 0xbf4f1bbd, v23
	v_mul_f32_e32 v41, 0xbf167918, v49
	v_fmac_f32_e32 v44, 0x3e9e377a, v29
	v_fmac_f32_e32 v25, 0x3e9e377a, v29
	v_add_f32_e32 v70, v20, v22
	v_add_f32_e32 v72, v58, v28
	v_fmac_f32_e32 v33, 0x3f167918, v50
	v_fmac_f32_e32 v41, 0x3f4f1bbd, v40
	v_mul_f32_e32 v40, 0xbf737871, v51
	v_mul_f32_e32 v45, 0xbf4f1bbd, v50
	v_sub_f32_e32 v50, v20, v22
	v_sub_f32_e32 v22, v58, v28
	v_add_f32_e32 v28, v12, v64
	v_fmac_f32_e32 v24, 0x3e9e377a, v52
	v_mul_f32_e32 v29, 0x3f737871, v44
	v_fmac_f32_e32 v40, 0x3e9e377a, v44
	v_mul_f32_e32 v44, 0xbe9e377a, v25
	v_add_f32_e32 v28, v28, v68
	v_fmac_f32_e32 v44, 0xbf737871, v24
	v_add_f32_e32 v28, v28, v56
	v_add_f32_e32 v55, v19, v44
	v_fmac_f32_e32 v45, 0xbf167918, v23
	v_sub_f32_e32 v19, v19, v44
	v_add_f32_e32 v44, v28, v60
	v_add_f32_e32 v28, v68, v56
	v_mul_f32_e32 v32, 0xbe9e377a, v24
	v_add_f32_e32 v48, v21, v33
	v_add_f32_e32 v49, v63, v45
	v_sub_f32_e32 v20, v21, v33
	v_sub_f32_e32 v21, v63, v45
	v_fma_f32 v45, -0.5, v28, v12
	v_fmac_f32_e32 v29, 0x3e9e377a, v51
	v_fmac_f32_e32 v32, 0x3f737871, v25
	v_sub_f32_e32 v28, v65, v61
	v_mov_b32_e32 v58, v45
	v_add_f32_e32 v52, v59, v29
	v_add_f32_e32 v54, v18, v32
	v_sub_f32_e32 v24, v59, v29
	v_sub_f32_e32 v18, v18, v32
	v_fmac_f32_e32 v58, 0x3f737871, v28
	v_sub_f32_e32 v29, v69, v57
	v_sub_f32_e32 v32, v64, v68
	;; [unrolled: 1-line block ×3, first 2 shown]
	v_fmac_f32_e32 v45, 0xbf737871, v28
	v_fmac_f32_e32 v58, 0x3f167918, v29
	v_add_f32_e32 v32, v32, v33
	v_fmac_f32_e32 v45, 0xbf167918, v29
	v_fmac_f32_e32 v58, 0x3e9e377a, v32
	;; [unrolled: 1-line block ×3, first 2 shown]
	v_add_f32_e32 v32, v64, v60
	v_fma_f32 v12, -0.5, v32, v12
	v_mov_b32_e32 v59, v12
	v_fmac_f32_e32 v59, 0xbf737871, v29
	v_fmac_f32_e32 v12, 0x3f737871, v29
	;; [unrolled: 1-line block ×4, first 2 shown]
	v_add_f32_e32 v28, v13, v65
	v_add_f32_e32 v28, v28, v69
	v_add_f32_e32 v28, v28, v57
	v_add_f32_e32 v71, v62, v74
	v_sub_f32_e32 v51, v62, v74
	v_add_f32_e32 v62, v28, v61
	v_add_f32_e32 v28, v69, v57
	v_sub_f32_e32 v32, v68, v64
	v_sub_f32_e32 v33, v56, v60
	v_fma_f32 v63, -0.5, v28, v13
	v_add_f32_e32 v32, v32, v33
	v_sub_f32_e32 v28, v64, v60
	v_mov_b32_e32 v60, v63
	v_fmac_f32_e32 v59, 0x3e9e377a, v32
	v_fmac_f32_e32 v12, 0x3e9e377a, v32
	;; [unrolled: 1-line block ×3, first 2 shown]
	v_sub_f32_e32 v29, v68, v56
	v_sub_f32_e32 v32, v65, v69
	v_sub_f32_e32 v33, v61, v57
	v_fmac_f32_e32 v63, 0x3f737871, v28
	v_fmac_f32_e32 v60, 0xbf167918, v29
	v_add_f32_e32 v32, v32, v33
	v_fmac_f32_e32 v63, 0x3f167918, v29
	v_fmac_f32_e32 v60, 0x3e9e377a, v32
	v_fmac_f32_e32 v63, 0x3e9e377a, v32
	v_add_f32_e32 v32, v65, v61
	v_fmac_f32_e32 v13, -0.5, v32
	v_mov_b32_e32 v64, v13
	v_fmac_f32_e32 v64, 0x3f737871, v29
	v_fmac_f32_e32 v13, 0xbf737871, v29
	;; [unrolled: 1-line block ×4, first 2 shown]
	v_add_f32_e32 v28, v26, v42
	v_add_f32_e32 v28, v28, v46
	;; [unrolled: 1-line block ×6, first 2 shown]
	v_sub_f32_e32 v23, v66, v41
	v_sub_f32_e32 v32, v69, v65
	;; [unrolled: 1-line block ×3, first 2 shown]
	v_fma_f32 v41, -0.5, v28, v26
	v_add_f32_e32 v32, v32, v33
	v_sub_f32_e32 v28, v43, v35
	v_mov_b32_e32 v33, v41
	v_add_f32_e32 v53, v67, v40
	v_sub_f32_e32 v25, v67, v40
	v_fmac_f32_e32 v64, 0x3e9e377a, v32
	v_fmac_f32_e32 v13, 0x3e9e377a, v32
	;; [unrolled: 1-line block ×3, first 2 shown]
	v_sub_f32_e32 v29, v47, v31
	v_sub_f32_e32 v32, v42, v46
	;; [unrolled: 1-line block ×3, first 2 shown]
	v_fmac_f32_e32 v41, 0xbf737871, v28
	v_fmac_f32_e32 v33, 0x3f167918, v29
	v_add_f32_e32 v32, v32, v40
	v_fmac_f32_e32 v41, 0xbf167918, v29
	v_fmac_f32_e32 v33, 0x3e9e377a, v32
	;; [unrolled: 1-line block ×3, first 2 shown]
	v_add_f32_e32 v32, v42, v34
	v_fma_f32 v26, -0.5, v32, v26
	v_mov_b32_e32 v57, v26
	v_fmac_f32_e32 v57, 0xbf737871, v29
	v_fmac_f32_e32 v26, 0x3f737871, v29
	;; [unrolled: 1-line block ×4, first 2 shown]
	v_add_f32_e32 v28, v27, v43
	v_add_f32_e32 v28, v28, v47
	;; [unrolled: 1-line block ×5, first 2 shown]
	v_sub_f32_e32 v32, v46, v42
	v_sub_f32_e32 v40, v30, v34
	v_fma_f32 v65, -0.5, v28, v27
	v_add_f32_e32 v32, v32, v40
	v_sub_f32_e32 v28, v42, v34
	v_mov_b32_e32 v42, v65
	v_fmac_f32_e32 v57, 0x3e9e377a, v32
	v_fmac_f32_e32 v26, 0x3e9e377a, v32
	;; [unrolled: 1-line block ×3, first 2 shown]
	v_sub_f32_e32 v29, v46, v30
	v_sub_f32_e32 v30, v43, v47
	;; [unrolled: 1-line block ×3, first 2 shown]
	v_fmac_f32_e32 v65, 0x3f737871, v28
	v_fmac_f32_e32 v42, 0xbf167918, v29
	v_add_f32_e32 v30, v30, v32
	v_fmac_f32_e32 v65, 0x3f167918, v29
	v_fmac_f32_e32 v42, 0x3e9e377a, v30
	;; [unrolled: 1-line block ×3, first 2 shown]
	v_add_f32_e32 v30, v43, v35
	v_fmac_f32_e32 v27, -0.5, v30
	v_mov_b32_e32 v46, v27
	v_sub_f32_e32 v30, v47, v43
	v_sub_f32_e32 v31, v31, v35
	v_fmac_f32_e32 v27, 0xbf737871, v29
	v_add_f32_e32 v30, v30, v31
	v_fmac_f32_e32 v27, 0x3f167918, v28
	v_fmac_f32_e32 v27, 0x3e9e377a, v30
	v_mul_f32_e32 v66, 0xbe9e377a, v26
	v_fmac_f32_e32 v46, 0x3f737871, v29
	v_mul_f32_e32 v43, 0x3f4f1bbd, v33
	;; [unrolled: 2-line block ×3, first 2 shown]
	v_fmac_f32_e32 v46, 0xbf167918, v28
	v_add_f32_e32 v28, v44, v56
	v_fmac_f32_e32 v43, 0x3f167918, v42
	v_add_f32_e32 v34, v12, v66
	v_fmac_f32_e32 v68, 0x3f4f1bbd, v42
	v_sub_f32_e32 v42, v44, v56
	v_sub_f32_e32 v44, v12, v66
	v_mul_lo_u16_e32 v12, 10, v209
	v_lshlrev_b32_e32 v12, 3, v12
	s_barrier
	ds_write_b128 v12, v[36:39]
	buffer_store_dword v12, off, s[24:27], 0 offset:432 ; 4-byte Folded Spill
	ds_write_b128 v12, v[14:17] offset:16
	ds_write_b128 v12, v[4:7] offset:32
	;; [unrolled: 1-line block ×4, first 2 shown]
	v_mul_lo_u16_sdwa v12, v209, s3 dst_sel:DWORD dst_unused:UNUSED_PAD src0_sel:BYTE_0 src1_sel:DWORD
	v_lshrrev_b16_e32 v92, 11, v12
	v_fmac_f32_e32 v46, 0x3e9e377a, v30
	v_mul_f32_e32 v27, 0xbe9e377a, v27
	v_mul_u32_u24_e32 v0, 10, v177
	v_mul_lo_u16_e32 v12, 10, v92
	v_mul_f32_e32 v47, 0x3f737871, v46
	v_mul_f32_e32 v67, 0xbf4f1bbd, v41
	;; [unrolled: 1-line block ×3, first 2 shown]
	v_fmac_f32_e32 v27, 0xbf737871, v26
	v_mul_f32_e32 v26, 0xbf4f1bbd, v65
	v_lshlrev_b32_e32 v0, 3, v0
	v_sub_u16_e32 v12, v209, v12
	v_fmac_f32_e32 v47, 0x3e9e377a, v57
	v_fmac_f32_e32 v67, 0x3f167918, v65
	;; [unrolled: 1-line block ×4, first 2 shown]
	ds_write_b128 v0, v[70:73]
	buffer_store_dword v0, off, s[24:27], 0 offset:428 ; 4-byte Folded Spill
	ds_write_b128 v0, v[52:55] offset:16
	ds_write_b128 v0, v[48:51] offset:32
	;; [unrolled: 1-line block ×4, first 2 shown]
	v_mul_u32_u24_e32 v0, 10, v178
	v_and_b32_e32 v95, 0xff, v12
	v_add_f32_e32 v30, v58, v43
	v_add_f32_e32 v32, v59, v47
	v_add_f32_e32 v40, v45, v67
	v_add_f32_e32 v29, v62, v61
	v_add_f32_e32 v31, v60, v68
	v_add_f32_e32 v33, v64, v69
	v_add_f32_e32 v35, v13, v27
	v_add_f32_e32 v41, v63, v26
	v_sub_f32_e32 v56, v58, v43
	v_sub_f32_e32 v58, v59, v47
	;; [unrolled: 1-line block ×8, first 2 shown]
	v_lshlrev_b32_e32 v0, 3, v0
	v_lshlrev_b32_e32 v12, 4, v95
	buffer_store_dword v0, off, s[24:27], 0 offset:380 ; 4-byte Folded Spill
	ds_write_b128 v0, v[28:31]
	ds_write_b128 v0, v[32:35] offset:16
	ds_write_b128 v0, v[40:43] offset:32
	;; [unrolled: 1-line block ×4, first 2 shown]
	s_waitcnt vmcnt(0) lgkmcnt(0)
	s_barrier
	ds_read2_b64 v[40:43], v247 offset1:81
	ds_read2_b64 v[20:23], v223 offset0:42 offset1:123
	ds_read2_b64 v[28:31], v217 offset0:84 offset1:165
	;; [unrolled: 1-line block ×14, first 2 shown]
	global_load_dwordx4 v[65:68], v12, s[10:11]
	s_waitcnt vmcnt(0)
	buffer_store_dword v65, off, s[24:27], 0 offset:248 ; 4-byte Folded Spill
	s_nop 0
	buffer_store_dword v66, off, s[24:27], 0 offset:252 ; 4-byte Folded Spill
	buffer_store_dword v67, off, s[24:27], 0 offset:256 ; 4-byte Folded Spill
	buffer_store_dword v68, off, s[24:27], 0 offset:260 ; 4-byte Folded Spill
	v_mov_b32_e32 v133, v78
	v_mul_u32_u24_e32 v92, 30, v92
	v_mov_b32_e32 v172, v133
	v_mov_b32_e32 v212, v172
	s_waitcnt lgkmcnt(13)
	v_mul_f32_e32 v12, v21, v66
	v_fma_f32 v12, v20, v65, -v12
	v_mul_f32_e32 v14, v20, v66
	v_mul_lo_u16_sdwa v20, v177, s3 dst_sel:DWORD dst_unused:UNUSED_PAD src0_sel:BYTE_0 src1_sel:DWORD
	v_lshrrev_b16_e32 v84, 11, v20
	v_mul_lo_u16_e32 v20, 10, v84
	v_sub_u16_e32 v20, v177, v20
	v_and_b32_e32 v85, 0xff, v20
	s_waitcnt lgkmcnt(12)
	v_mul_f32_e32 v13, v29, v68
	v_mul_f32_e32 v15, v28, v68
	v_lshlrev_b32_e32 v20, 4, v85
	v_fma_f32 v13, v28, v67, -v13
	v_fmac_f32_e32 v15, v29, v67
	global_load_dwordx4 v[66:69], v20, s[10:11]
	s_waitcnt vmcnt(0)
	buffer_store_dword v66, off, s[24:27], 0 offset:264 ; 4-byte Folded Spill
	s_nop 0
	buffer_store_dword v67, off, s[24:27], 0 offset:268 ; 4-byte Folded Spill
	buffer_store_dword v68, off, s[24:27], 0 offset:272 ; 4-byte Folded Spill
	;; [unrolled: 1-line block ×3, first 2 shown]
	v_fmac_f32_e32 v14, v21, v65
	v_mul_f32_e32 v20, v23, v67
	v_fma_f32 v48, v22, v66, -v20
	v_mul_f32_e32 v65, v22, v67
	v_mul_f32_e32 v20, v31, v69
	v_fmac_f32_e32 v65, v23, v66
	v_fma_f32 v66, v30, v68, -v20
	v_mul_lo_u16_sdwa v20, v178, s3 dst_sel:DWORD dst_unused:UNUSED_PAD src0_sel:BYTE_0 src1_sel:DWORD
	v_lshrrev_b16_e32 v86, 11, v20
	v_mul_lo_u16_e32 v20, 10, v86
	v_sub_u16_e32 v20, v178, v20
	v_and_b32_e32 v88, 0xff, v20
	v_mul_f32_e32 v67, v30, v69
	v_lshlrev_b32_e32 v20, 4, v88
	v_fmac_f32_e32 v67, v31, v68
	global_load_dwordx4 v[28:31], v20, s[10:11]
	s_waitcnt vmcnt(0)
	buffer_store_dword v28, off, s[24:27], 0 offset:280 ; 4-byte Folded Spill
	s_nop 0
	buffer_store_dword v29, off, s[24:27], 0 offset:284 ; 4-byte Folded Spill
	buffer_store_dword v30, off, s[24:27], 0 offset:288 ; 4-byte Folded Spill
	;; [unrolled: 1-line block ×3, first 2 shown]
	s_mov_b32 s3, 0xcccd
	s_waitcnt lgkmcnt(10)
	v_mul_f32_e32 v20, v37, v29
	v_fma_f32 v73, v36, v28, -v20
	s_waitcnt lgkmcnt(9)
	v_mul_f32_e32 v20, v45, v31
	v_fma_f32 v104, v44, v30, -v20
	v_mul_u32_u24_sdwa v20, v220, s3 dst_sel:DWORD dst_unused:UNUSED_PAD src0_sel:WORD_0 src1_sel:DWORD
	v_lshrrev_b32_e32 v87, 19, v20
	v_mul_lo_u16_e32 v20, 10, v87
	v_sub_u16_e32 v89, v220, v20
	v_lshlrev_b16_e32 v20, 1, v89
	v_mul_f32_e32 v69, v36, v29
	v_mul_f32_e32 v105, v44, v31
	v_lshlrev_b32_e32 v20, 3, v20
	v_fmac_f32_e32 v69, v37, v28
	v_fmac_f32_e32 v105, v45, v30
	global_load_dwordx4 v[28:31], v20, s[10:11]
	s_waitcnt vmcnt(0)
	buffer_store_dword v28, off, s[24:27], 0 offset:296 ; 4-byte Folded Spill
	s_nop 0
	buffer_store_dword v29, off, s[24:27], 0 offset:300 ; 4-byte Folded Spill
	buffer_store_dword v30, off, s[24:27], 0 offset:304 ; 4-byte Folded Spill
	;; [unrolled: 1-line block ×3, first 2 shown]
	v_mul_f32_e32 v20, v39, v29
	v_fma_f32 v106, v38, v28, -v20
	v_mul_f32_e32 v20, v47, v31
	v_fma_f32 v108, v46, v30, -v20
	v_mul_u32_u24_sdwa v20, v218, s3 dst_sel:DWORD dst_unused:UNUSED_PAD src0_sel:WORD_0 src1_sel:DWORD
	v_lshrrev_b32_e32 v90, 19, v20
	v_mul_lo_u16_e32 v20, 10, v90
	v_sub_u16_e32 v93, v218, v20
	v_lshlrev_b16_e32 v20, 1, v93
	v_lshlrev_b32_e32 v20, 3, v20
	global_load_dwordx4 v[20:23], v20, s[10:11]
	s_waitcnt vmcnt(0)
	buffer_store_dword v20, off, s[24:27], 0 offset:332 ; 4-byte Folded Spill
	s_nop 0
	buffer_store_dword v21, off, s[24:27], 0 offset:336 ; 4-byte Folded Spill
	buffer_store_dword v22, off, s[24:27], 0 offset:340 ; 4-byte Folded Spill
	;; [unrolled: 1-line block ×3, first 2 shown]
	v_mul_f32_e32 v107, v38, v29
	v_fmac_f32_e32 v107, v39, v28
	v_mul_f32_e32 v109, v46, v31
	v_fmac_f32_e32 v109, v47, v30
	s_waitcnt lgkmcnt(7)
	v_mul_f32_e32 v28, v50, v21
	v_fma_f32 v110, v49, v20, -v28
	s_waitcnt lgkmcnt(6)
	v_mul_f32_e32 v28, v54, v23
	v_fma_f32 v111, v53, v22, -v28
	v_mul_u32_u24_sdwa v28, v251, s3 dst_sel:DWORD dst_unused:UNUSED_PAD src0_sel:WORD_0 src1_sel:DWORD
	v_lshrrev_b32_e32 v91, 19, v28
	v_mul_lo_u16_e32 v28, 10, v91
	v_sub_u16_e32 v94, v251, v28
	v_lshlrev_b16_e32 v28, 1, v94
	v_lshlrev_b32_e32 v28, 3, v28
	global_load_dwordx4 v[28:31], v28, s[10:11]
	v_mul_f32_e32 v49, v49, v21
	v_fmac_f32_e32 v49, v50, v20
	v_mul_f32_e32 v112, v53, v23
	v_fmac_f32_e32 v112, v54, v22
	v_add_lshl_u32 v20, v92, v95, 3
	v_mov_b32_e32 v23, v131
	v_mov_b32_e32 v210, v23
	;; [unrolled: 1-line block ×3, first 2 shown]
	s_waitcnt vmcnt(0)
	v_mul_f32_e32 v36, v52, v29
	v_fma_f32 v113, v51, v28, -v36
	v_mul_f32_e32 v36, v56, v31
	v_fma_f32 v115, v55, v30, -v36
	v_mul_u32_u24_sdwa v36, v249, s3 dst_sel:DWORD dst_unused:UNUSED_PAD src0_sel:WORD_0 src1_sel:DWORD
	v_lshrrev_b32_e32 v96, 19, v36
	v_mul_lo_u16_e32 v36, 10, v96
	v_sub_u16_e32 v98, v249, v36
	v_lshlrev_b16_e32 v36, 1, v98
	v_lshlrev_b32_e32 v36, 3, v36
	global_load_dwordx4 v[36:39], v36, s[10:11]
	v_mul_f32_e32 v114, v51, v29
	v_fmac_f32_e32 v114, v52, v28
	v_mul_f32_e32 v116, v55, v31
	v_fmac_f32_e32 v116, v56, v30
	s_waitcnt vmcnt(0) lgkmcnt(4)
	v_mul_f32_e32 v44, v58, v37
	v_fma_f32 v117, v57, v36, -v44
	s_waitcnt lgkmcnt(3)
	v_mul_f32_e32 v44, v62, v39
	v_fma_f32 v119, v61, v38, -v44
	v_mul_u32_u24_sdwa v44, v230, s3 dst_sel:DWORD dst_unused:UNUSED_PAD src0_sel:WORD_0 src1_sel:DWORD
	v_lshrrev_b32_e32 v97, 19, v44
	v_mul_lo_u16_e32 v44, 10, v97
	v_sub_u16_e32 v99, v230, v44
	v_lshlrev_b16_e32 v44, 1, v99
	v_lshlrev_b32_e32 v44, 3, v44
	global_load_dwordx4 v[44:47], v44, s[10:11]
	v_mul_f32_e32 v120, v61, v39
	v_fmac_f32_e32 v120, v62, v38
	v_mul_f32_e32 v118, v57, v37
	v_fmac_f32_e32 v118, v58, v36
	s_waitcnt vmcnt(0)
	v_mul_f32_e32 v50, v60, v45
	v_fma_f32 v121, v59, v44, -v50
	v_mul_f32_e32 v50, v64, v47
	v_fma_f32 v123, v63, v46, -v50
	v_mul_u32_u24_sdwa v50, v250, s3 dst_sel:DWORD dst_unused:UNUSED_PAD src0_sel:WORD_0 src1_sel:DWORD
	v_lshrrev_b32_e32 v100, 19, v50
	v_mul_lo_u16_e32 v50, 10, v100
	v_sub_u16_e32 v102, v250, v50
	v_lshlrev_b16_e32 v50, 1, v102
	v_lshlrev_b32_e32 v50, 3, v50
	global_load_dwordx4 v[52:55], v50, s[10:11]
	v_mul_f32_e32 v122, v59, v45
	v_fmac_f32_e32 v122, v60, v44
	v_mul_f32_e32 v124, v63, v47
	v_fmac_f32_e32 v124, v64, v46
	s_waitcnt vmcnt(0) lgkmcnt(1)
	v_mul_f32_e32 v50, v9, v53
	v_fma_f32 v125, v8, v52, -v50
	v_mul_f32_e32 v126, v8, v53
	s_waitcnt lgkmcnt(0)
	v_mul_f32_e32 v8, v5, v55
	v_fma_f32 v127, v4, v54, -v8
	v_mul_f32_e32 v4, v4, v55
	v_fmac_f32_e32 v4, v5, v54
	v_mul_u32_u24_sdwa v5, v248, s3 dst_sel:DWORD dst_unused:UNUSED_PAD src0_sel:WORD_0 src1_sel:DWORD
	v_lshrrev_b32_e32 v101, 19, v5
	v_mul_lo_u16_e32 v5, 10, v101
	v_sub_u16_e32 v103, v248, v5
	v_lshlrev_b16_e32 v5, 1, v103
	v_lshlrev_b32_e32 v5, 3, v5
	global_load_dwordx4 v[60:63], v5, s[10:11]
	s_waitcnt vmcnt(0)
	s_barrier
	buffer_store_dword v20, off, s[24:27], 0 offset:384 ; 4-byte Folded Spill
	v_fmac_f32_e32 v126, v9, v52
	s_movk_i32 s3, 0x89
	v_mul_f32_e32 v8, v7, v63
	v_fma_f32 v129, v6, v62, -v8
	v_mul_f32_e32 v130, v6, v63
	v_add_f32_e32 v6, v40, v12
	v_add_f32_e32 v80, v6, v13
	v_add_f32_e32 v6, v12, v13
	v_fma_f32 v76, -0.5, v6, v40
	v_sub_f32_e32 v6, v14, v15
	v_mov_b32_e32 v82, v76
	v_fmac_f32_e32 v82, 0x3f5db3d7, v6
	v_fmac_f32_e32 v76, 0xbf5db3d7, v6
	v_add_f32_e32 v6, v41, v14
	v_add_f32_e32 v81, v6, v15
	v_add_f32_e32 v6, v14, v15
	v_fma_f32 v77, -0.5, v6, v41
	v_sub_f32_e32 v6, v12, v13
	v_mov_b32_e32 v83, v77
	v_fmac_f32_e32 v83, 0xbf5db3d7, v6
	v_fmac_f32_e32 v77, 0x3f5db3d7, v6
	v_add_f32_e32 v6, v42, v48
	v_add_f32_e32 v74, v6, v66
	v_add_f32_e32 v6, v48, v66
	v_fma_f32 v42, -0.5, v6, v42
	v_sub_f32_e32 v6, v65, v67
	v_mov_b32_e32 v78, v42
	v_fmac_f32_e32 v78, 0x3f5db3d7, v6
	v_fmac_f32_e32 v42, 0xbf5db3d7, v6
	v_add_f32_e32 v6, v43, v65
	v_add_f32_e32 v75, v6, v67
	v_add_f32_e32 v6, v65, v67
	v_fmac_f32_e32 v43, -0.5, v6
	v_sub_f32_e32 v6, v48, v66
	v_mov_b32_e32 v79, v43
	v_fmac_f32_e32 v79, 0xbf5db3d7, v6
	v_fmac_f32_e32 v43, 0x3f5db3d7, v6
	v_add_f32_e32 v6, v32, v73
	v_add_f32_e32 v70, v6, v104
	v_add_f32_e32 v6, v73, v104
	v_fma_f32 v68, -0.5, v6, v32
	v_sub_f32_e32 v6, v69, v105
	v_mov_b32_e32 v72, v68
	v_fmac_f32_e32 v72, 0x3f5db3d7, v6
	v_fmac_f32_e32 v68, 0xbf5db3d7, v6
	v_add_f32_e32 v6, v33, v69
	v_add_f32_e32 v71, v6, v105
	v_add_f32_e32 v6, v69, v105
	v_fma_f32 v69, -0.5, v6, v33
	v_sub_f32_e32 v6, v73, v104
	v_mov_b32_e32 v73, v69
	v_fmac_f32_e32 v73, 0xbf5db3d7, v6
	v_fmac_f32_e32 v69, 0x3f5db3d7, v6
	v_add_f32_e32 v6, v34, v106
	v_add_f32_e32 v64, v6, v108
	v_add_f32_e32 v6, v106, v108
	v_fma_f32 v34, -0.5, v6, v34
	v_sub_f32_e32 v6, v107, v109
	v_mov_b32_e32 v66, v34
	v_fmac_f32_e32 v66, 0x3f5db3d7, v6
	v_fmac_f32_e32 v34, 0xbf5db3d7, v6
	v_add_f32_e32 v6, v35, v107
	v_add_f32_e32 v65, v6, v109
	v_add_f32_e32 v6, v107, v109
	v_fmac_f32_e32 v35, -0.5, v6
	v_sub_f32_e32 v6, v106, v108
	v_mov_b32_e32 v67, v35
	v_fmac_f32_e32 v67, 0xbf5db3d7, v6
	v_fmac_f32_e32 v35, 0x3f5db3d7, v6
	;; [unrolled: 32-line block ×3, first 2 shown]
	v_add_f32_e32 v6, v16, v117
	v_add_f32_e32 v24, v6, v119
	;; [unrolled: 1-line block ×3, first 2 shown]
	v_fma_f32 v16, -0.5, v6, v16
	v_sub_f32_e32 v6, v118, v120
	v_mov_b32_e32 v32, v16
	v_fmac_f32_e32 v32, 0x3f5db3d7, v6
	v_fmac_f32_e32 v16, 0xbf5db3d7, v6
	v_add_f32_e32 v6, v17, v118
	v_add_f32_e32 v25, v6, v120
	;; [unrolled: 1-line block ×3, first 2 shown]
	v_fma_f32 v17, -0.5, v6, v17
	v_sub_f32_e32 v6, v117, v119
	v_mov_b32_e32 v33, v17
	v_fmac_f32_e32 v33, 0xbf5db3d7, v6
	v_fmac_f32_e32 v17, 0x3f5db3d7, v6
	v_add_f32_e32 v6, v18, v121
	v_add_f32_e32 v12, v6, v123
	;; [unrolled: 1-line block ×3, first 2 shown]
	v_fma_f32 v18, -0.5, v6, v18
	v_sub_f32_e32 v6, v122, v124
	v_mov_b32_e32 v14, v18
	ds_write2_b64 v20, v[80:81], v[82:83] offset1:10
	ds_write_b64 v20, v[76:77] offset:160
	v_mul_u32_u24_e32 v76, 30, v84
	v_fmac_f32_e32 v14, 0x3f5db3d7, v6
	v_fmac_f32_e32 v18, 0xbf5db3d7, v6
	v_add_f32_e32 v6, v19, v122
	v_add_lshl_u32 v20, v76, v85, 3
	v_add_f32_e32 v13, v6, v124
	v_add_f32_e32 v6, v122, v124
	buffer_store_dword v20, off, s[24:27], 0 offset:376 ; 4-byte Folded Spill
	ds_write2_b64 v20, v[74:75], v[78:79] offset1:10
	ds_write_b64 v20, v[42:43] offset:160
	v_mul_u32_u24_e32 v42, 30, v86
	v_fmac_f32_e32 v19, -0.5, v6
	v_add_lshl_u32 v20, v42, v88, 3
	v_mad_legacy_u16 v42, v87, 30, v89
	v_sub_f32_e32 v6, v121, v123
	v_mov_b32_e32 v15, v19
	buffer_store_dword v20, off, s[24:27], 0 offset:372 ; 4-byte Folded Spill
	ds_write2_b64 v20, v[70:71], v[72:73] offset1:10
	ds_write_b64 v20, v[68:69] offset:160
	v_lshlrev_b32_e32 v20, 3, v42
	v_fmac_f32_e32 v15, 0xbf5db3d7, v6
	v_fmac_f32_e32 v19, 0x3f5db3d7, v6
	v_add_f32_e32 v6, v0, v125
	buffer_store_dword v20, off, s[24:27], 0 offset:368 ; 4-byte Folded Spill
	ds_write2_b64 v20, v[64:65], v[66:67] offset1:10
	ds_write_b64 v20, v[34:35] offset:160
	v_mad_legacy_u16 v34, v90, 30, v93
	v_add_f32_e32 v8, v6, v127
	v_add_f32_e32 v6, v125, v127
	v_lshlrev_b32_e32 v20, 3, v34
	v_mad_legacy_u16 v34, v91, 30, v94
	v_mul_f32_e32 v5, v11, v61
	v_fma_f32 v6, -0.5, v6, v0
	buffer_store_dword v20, off, s[24:27], 0 offset:364 ; 4-byte Folded Spill
	ds_write2_b64 v20, v[56:57], v[58:59] offset1:10
	ds_write_b64 v20, v[50:51] offset:160
	v_lshlrev_b32_e32 v20, 3, v34
	v_fma_f32 v5, v10, v60, -v5
	v_mul_f32_e32 v128, v10, v61
	v_sub_f32_e32 v0, v126, v4
	v_mov_b32_e32 v10, v6
	buffer_store_dword v20, off, s[24:27], 0 offset:360 ; 4-byte Folded Spill
	ds_write2_b64 v20, v[40:41], v[48:49] offset1:10
	ds_write_b64 v20, v[26:27] offset:160
	v_mad_legacy_u16 v26, v96, 30, v98
	v_fmac_f32_e32 v10, 0x3f5db3d7, v0
	v_fmac_f32_e32 v6, 0xbf5db3d7, v0
	v_add_f32_e32 v0, v1, v126
	v_lshlrev_b32_e32 v20, 3, v26
	v_add_f32_e32 v9, v0, v4
	v_add_f32_e32 v0, v126, v4
	buffer_store_dword v20, off, s[24:27], 0 offset:356 ; 4-byte Folded Spill
	ds_write2_b64 v20, v[24:25], v[32:33] offset1:10
	ds_write_b64 v20, v[16:17] offset:160
	v_mad_legacy_u16 v16, v97, 30, v99
	v_fmac_f32_e32 v130, v7, v62
	v_fma_f32 v7, -0.5, v0, v1
	v_lshlrev_b32_e32 v16, 3, v16
	v_fmac_f32_e32 v128, v11, v60
	v_sub_f32_e32 v0, v125, v127
	v_mov_b32_e32 v11, v7
	buffer_store_dword v16, off, s[24:27], 0 offset:352 ; 4-byte Folded Spill
	ds_write2_b64 v16, v[12:13], v[14:15] offset1:10
	ds_write_b64 v16, v[18:19] offset:160
	v_mad_legacy_u16 v12, v100, 30, v102
	v_fmac_f32_e32 v11, 0xbf5db3d7, v0
	v_lshlrev_b32_e32 v12, 3, v12
	v_fmac_f32_e32 v7, 0x3f5db3d7, v0
	v_add_f32_e32 v1, v5, v129
	buffer_store_dword v12, off, s[24:27], 0 offset:348 ; 4-byte Folded Spill
	ds_write2_b64 v12, v[8:9], v[10:11] offset1:10
	ds_write_b64 v12, v[6:7] offset:160
	v_mul_lo_u16_sdwa v12, v209, s3 dst_sel:DWORD dst_unused:UNUSED_PAD src0_sel:BYTE_0 src1_sel:DWORD
	v_add_f32_e32 v0, v2, v5
	v_fma_f32 v2, -0.5, v1, v2
	v_lshrrev_b16_e32 v141, 12, v12
	v_sub_f32_e32 v1, v128, v130
	v_mov_b32_e32 v4, v2
	v_add_f32_e32 v104, v128, v130
	v_mul_lo_u16_e32 v12, 30, v141
	v_fmac_f32_e32 v4, 0x3f5db3d7, v1
	v_fmac_f32_e32 v2, 0xbf5db3d7, v1
	v_add_f32_e32 v1, v3, v128
	v_fmac_f32_e32 v3, -0.5, v104
	v_sub_u16_e32 v12, v209, v12
	v_sub_f32_e32 v104, v5, v129
	v_mov_b32_e32 v5, v3
	v_mad_legacy_u16 v6, v101, 30, v103
	v_and_b32_e32 v142, 0xff, v12
	v_add_f32_e32 v0, v0, v129
	v_add_f32_e32 v1, v1, v130
	v_fmac_f32_e32 v5, 0xbf5db3d7, v104
	v_fmac_f32_e32 v3, 0x3f5db3d7, v104
	v_lshlrev_b32_e32 v6, 3, v6
	v_lshlrev_b32_e32 v12, 4, v142
	buffer_store_dword v6, off, s[24:27], 0 offset:312 ; 4-byte Folded Spill
	ds_write2_b64 v6, v[0:1], v[4:5] offset1:10
	ds_write_b64 v6, v[2:3] offset:160
	s_waitcnt vmcnt(0) lgkmcnt(0)
	s_barrier
	ds_read2_b64 v[92:95], v247 offset1:81
	ds_read2_b64 v[15:18], v223 offset0:42 offset1:123
	ds_read2_b64 v[32:35], v217 offset0:84 offset1:165
	;; [unrolled: 1-line block ×14, first 2 shown]
	global_load_dwordx4 v[19:22], v12, s[10:11] offset:160
	s_waitcnt vmcnt(0)
	buffer_store_dword v19, off, s[24:27], 0 offset:316 ; 4-byte Folded Spill
	s_nop 0
	buffer_store_dword v20, off, s[24:27], 0 offset:320 ; 4-byte Folded Spill
	buffer_store_dword v21, off, s[24:27], 0 offset:324 ; 4-byte Folded Spill
	;; [unrolled: 1-line block ×3, first 2 shown]
	s_waitcnt lgkmcnt(13)
	v_mul_f32_e32 v14, v15, v20
	v_mul_f32_e32 v12, v16, v20
	v_fmac_f32_e32 v14, v16, v19
	v_mul_lo_u16_sdwa v16, v177, s3 dst_sel:DWORD dst_unused:UNUSED_PAD src0_sel:BYTE_0 src1_sel:DWORD
	v_lshrrev_b16_e32 v139, 12, v16
	v_mul_lo_u16_e32 v16, 30, v139
	v_sub_u16_e32 v16, v177, v16
	v_and_b32_e32 v140, 0xff, v16
	v_lshlrev_b32_e32 v16, 4, v140
	global_load_dwordx4 v[24:27], v16, s[10:11] offset:160
	s_waitcnt lgkmcnt(12)
	v_mul_f32_e32 v13, v33, v22
	v_fma_f32 v12, v15, v19, -v12
	v_fma_f32 v13, v32, v21, -v13
	v_mul_f32_e32 v15, v32, v22
	v_mul_lo_u16_sdwa v32, v178, s3 dst_sel:DWORD dst_unused:UNUSED_PAD src0_sel:BYTE_0 src1_sel:DWORD
	v_lshrrev_b16_e32 v137, 12, v32
	v_mul_lo_u16_e32 v32, 30, v137
	v_sub_u16_e32 v32, v178, v32
	v_and_b32_e32 v138, 0xff, v32
	v_lshlrev_b32_e32 v32, 4, v138
	v_fmac_f32_e32 v15, v33, v21
	s_mov_b32 s3, 0x8889
	v_mov_b32_e32 v21, v170
	v_mov_b32_e32 v22, v168
	v_mov_b32_e32 v246, v22
	v_mov_b32_e32 v254, v21
	s_waitcnt vmcnt(0)
	v_mul_f32_e32 v16, v18, v25
	v_fma_f32 v16, v17, v24, -v16
	v_mul_f32_e32 v17, v17, v25
	v_fmac_f32_e32 v17, v18, v24
	v_mul_f32_e32 v18, v35, v27
	v_mul_f32_e32 v19, v34, v27
	v_fma_f32 v18, v34, v26, -v18
	v_fmac_f32_e32 v19, v35, v26
	global_load_dwordx4 v[32:35], v32, s[10:11] offset:160
	s_waitcnt vmcnt(0) lgkmcnt(10)
	v_mul_f32_e32 v40, v49, v33
	v_fma_f32 v96, v48, v32, -v40
	s_waitcnt lgkmcnt(9)
	v_mul_f32_e32 v40, v57, v35
	v_fma_f32 v98, v56, v34, -v40
	v_mul_u32_u24_sdwa v40, v220, s3 dst_sel:DWORD dst_unused:UNUSED_PAD src0_sel:WORD_0 src1_sel:DWORD
	v_lshrrev_b32_e32 v134, 20, v40
	v_mul_lo_u16_e32 v40, 30, v134
	v_sub_u16_e32 v135, v220, v40
	v_lshlrev_b16_e32 v40, 4, v135
	v_add_co_u32_e32 v40, vcc, s10, v40
	v_addc_co_u32_e32 v41, vcc, 0, v225, vcc
	global_load_dwordx4 v[40:43], v[40:41], off offset:160
	v_mul_f32_e32 v97, v48, v33
	v_fmac_f32_e32 v97, v49, v32
	v_mul_f32_e32 v99, v56, v35
	v_fmac_f32_e32 v99, v57, v34
	s_waitcnt vmcnt(0)
	v_mul_f32_e32 v48, v51, v41
	v_fma_f32 v100, v50, v40, -v48
	v_mul_f32_e32 v48, v59, v43
	v_fma_f32 v105, v58, v42, -v48
	v_mul_u32_u24_sdwa v48, v218, s3 dst_sel:DWORD dst_unused:UNUSED_PAD src0_sel:WORD_0 src1_sel:DWORD
	v_lshrrev_b32_e32 v122, 20, v48
	v_mul_lo_u16_e32 v48, 30, v122
	v_sub_u16_e32 v124, v218, v48
	v_lshlrev_b16_e32 v48, 4, v124
	v_add_co_u32_e32 v48, vcc, s10, v48
	v_mul_f32_e32 v101, v50, v41
	v_addc_co_u32_e32 v49, vcc, 0, v225, vcc
	v_fmac_f32_e32 v101, v51, v40
	global_load_dwordx4 v[48:51], v[48:49], off offset:160
	v_mul_f32_e32 v143, v58, v43
	v_fmac_f32_e32 v143, v59, v42
	s_waitcnt vmcnt(0) lgkmcnt(7)
	v_mul_f32_e32 v56, v65, v49
	v_fma_f32 v144, v64, v48, -v56
	s_waitcnt lgkmcnt(6)
	v_mul_f32_e32 v56, v69, v51
	v_fma_f32 v146, v68, v50, -v56
	v_mul_u32_u24_sdwa v56, v251, s3 dst_sel:DWORD dst_unused:UNUSED_PAD src0_sel:WORD_0 src1_sel:DWORD
	v_lshrrev_b32_e32 v123, 20, v56
	v_mul_lo_u16_e32 v56, 30, v123
	v_sub_u16_e32 v125, v251, v56
	v_lshlrev_b16_e32 v56, 4, v125
	v_add_co_u32_e32 v56, vcc, s10, v56
	v_addc_co_u32_e32 v57, vcc, 0, v225, vcc
	global_load_dwordx4 v[56:59], v[56:57], off offset:160
	v_mul_f32_e32 v145, v64, v49
	v_fmac_f32_e32 v145, v65, v48
	v_mul_f32_e32 v147, v68, v51
	v_fmac_f32_e32 v147, v69, v50
	s_waitcnt vmcnt(0)
	v_mul_f32_e32 v64, v67, v57
	v_fma_f32 v148, v66, v56, -v64
	v_mul_f32_e32 v64, v71, v59
	v_fma_f32 v150, v70, v58, -v64
	v_mul_u32_u24_sdwa v64, v249, s3 dst_sel:DWORD dst_unused:UNUSED_PAD src0_sel:WORD_0 src1_sel:DWORD
	v_lshrrev_b32_e32 v126, 20, v64
	v_mul_lo_u16_e32 v64, 30, v126
	v_sub_u16_e32 v128, v249, v64
	v_lshlrev_b16_e32 v64, 4, v128
	v_add_co_u32_e32 v64, vcc, s10, v64
	v_mul_f32_e32 v149, v66, v57
	v_addc_co_u32_e32 v65, vcc, 0, v225, vcc
	v_fmac_f32_e32 v149, v67, v56
	global_load_dwordx4 v[64:67], v[64:65], off offset:160
	v_mul_f32_e32 v151, v70, v59
	v_fmac_f32_e32 v151, v71, v58
	;; [unrolled: 35-line block ×3, first 2 shown]
	s_waitcnt vmcnt(0) lgkmcnt(1)
	v_mul_f32_e32 v76, v9, v73
	v_fma_f32 v160, v8, v72, -v76
	v_mul_f32_e32 v161, v8, v73
	s_waitcnt lgkmcnt(0)
	v_mul_f32_e32 v8, v5, v75
	v_fma_f32 v162, v4, v74, -v8
	v_mul_f32_e32 v163, v4, v75
	v_mul_u32_u24_sdwa v4, v248, s3 dst_sel:DWORD dst_unused:UNUSED_PAD src0_sel:WORD_0 src1_sel:DWORD
	v_lshrrev_b32_e32 v131, 20, v4
	v_mul_lo_u16_e32 v4, 30, v131
	v_sub_u16_e32 v133, v248, v4
	v_lshlrev_b16_e32 v4, 4, v133
	v_add_co_u32_e32 v4, vcc, s10, v4
	v_fmac_f32_e32 v163, v5, v74
	v_addc_co_u32_e32 v5, vcc, 0, v225, vcc
	global_load_dwordx4 v[76:79], v[4:5], off offset:160
	v_fmac_f32_e32 v161, v9, v72
	s_waitcnt vmcnt(0)
	s_barrier
	s_movk_i32 s3, 0x5a
	v_add_co_u32_e32 v179, vcc, s10, v181
	v_addc_co_u32_e32 v180, vcc, 0, v225, vcc
	v_mul_f32_e32 v4, v11, v77
	v_fma_f32 v5, v10, v76, -v4
	v_mul_f32_e32 v4, v7, v79
	v_fma_f32 v165, v6, v78, -v4
	v_add_f32_e32 v4, v92, v12
	v_add_f32_e32 v118, v4, v13
	v_add_f32_e32 v4, v12, v13
	v_fma_f32 v116, -0.5, v4, v92
	v_sub_f32_e32 v4, v14, v15
	v_mov_b32_e32 v120, v116
	v_fmac_f32_e32 v120, 0x3f5db3d7, v4
	v_fmac_f32_e32 v116, 0xbf5db3d7, v4
	v_add_f32_e32 v4, v93, v14
	v_add_f32_e32 v119, v4, v15
	v_add_f32_e32 v4, v14, v15
	v_fma_f32 v117, -0.5, v4, v93
	v_sub_f32_e32 v4, v12, v13
	v_mov_b32_e32 v121, v117
	v_fmac_f32_e32 v121, 0xbf5db3d7, v4
	v_fmac_f32_e32 v117, 0x3f5db3d7, v4
	v_add_f32_e32 v4, v94, v16
	v_add_f32_e32 v112, v4, v18
	v_add_f32_e32 v4, v16, v18
	v_fma_f32 v94, -0.5, v4, v94
	v_sub_f32_e32 v4, v17, v19
	v_mov_b32_e32 v114, v94
	v_fmac_f32_e32 v114, 0x3f5db3d7, v4
	v_fmac_f32_e32 v94, 0xbf5db3d7, v4
	v_add_f32_e32 v4, v95, v17
	v_add_f32_e32 v113, v4, v19
	v_add_f32_e32 v4, v17, v19
	v_fmac_f32_e32 v95, -0.5, v4
	v_sub_f32_e32 v4, v16, v18
	v_mov_b32_e32 v115, v95
	v_fmac_f32_e32 v115, 0xbf5db3d7, v4
	v_fmac_f32_e32 v95, 0x3f5db3d7, v4
	v_add_f32_e32 v4, v0, v96
	v_add_f32_e32 v108, v4, v98
	v_add_f32_e32 v4, v96, v98
	v_fma_f32 v106, -0.5, v4, v0
	v_sub_f32_e32 v0, v97, v99
	v_mov_b32_e32 v110, v106
	v_fmac_f32_e32 v110, 0x3f5db3d7, v0
	v_fmac_f32_e32 v106, 0xbf5db3d7, v0
	v_add_f32_e32 v0, v1, v97
	v_add_f32_e32 v109, v0, v99
	v_add_f32_e32 v0, v97, v99
	v_fma_f32 v107, -0.5, v0, v1
	v_sub_f32_e32 v0, v96, v98
	v_mov_b32_e32 v111, v107
	v_fmac_f32_e32 v111, 0xbf5db3d7, v0
	v_fmac_f32_e32 v107, 0x3f5db3d7, v0
	v_add_f32_e32 v0, v2, v100
	v_add_f32_e32 v102, v0, v105
	v_add_f32_e32 v0, v100, v105
	v_fma_f32 v2, -0.5, v0, v2
	v_sub_f32_e32 v0, v101, v143
	v_mov_b32_e32 v104, v2
	v_fmac_f32_e32 v104, 0x3f5db3d7, v0
	v_fmac_f32_e32 v2, 0xbf5db3d7, v0
	v_add_f32_e32 v0, v3, v101
	v_add_f32_e32 v103, v0, v143
	v_add_f32_e32 v0, v101, v143
	v_fmac_f32_e32 v3, -0.5, v0
	v_sub_f32_e32 v0, v100, v105
	v_mov_b32_e32 v105, v3
	v_fmac_f32_e32 v105, 0xbf5db3d7, v0
	v_fmac_f32_e32 v3, 0x3f5db3d7, v0
	;; [unrolled: 32-line block ×4, first 2 shown]
	v_add_f32_e32 v0, v80, v160
	v_add_f32_e32 v8, v0, v162
	;; [unrolled: 1-line block ×3, first 2 shown]
	v_mul_f32_e32 v166, v6, v79
	v_fma_f32 v6, -0.5, v0, v80
	v_mul_f32_e32 v164, v10, v77
	v_sub_f32_e32 v0, v161, v163
	v_mov_b32_e32 v10, v6
	v_fmac_f32_e32 v10, 0x3f5db3d7, v0
	v_fmac_f32_e32 v6, 0xbf5db3d7, v0
	v_add_f32_e32 v0, v81, v161
	v_add_f32_e32 v9, v0, v163
	;; [unrolled: 1-line block ×3, first 2 shown]
	v_fmac_f32_e32 v166, v7, v78
	v_fma_f32 v7, -0.5, v0, v81
	v_fmac_f32_e32 v164, v11, v76
	v_sub_f32_e32 v0, v160, v162
	v_mov_b32_e32 v11, v7
	v_add_f32_e32 v1, v5, v165
	v_fmac_f32_e32 v11, 0xbf5db3d7, v0
	v_fmac_f32_e32 v7, 0x3f5db3d7, v0
	v_add_f32_e32 v0, v82, v5
	v_fma_f32 v82, -0.5, v1, v82
	v_sub_f32_e32 v1, v164, v166
	v_mov_b32_e32 v4, v82
	v_add_f32_e32 v80, v164, v166
	v_fmac_f32_e32 v4, 0x3f5db3d7, v1
	v_fmac_f32_e32 v82, 0xbf5db3d7, v1
	v_add_f32_e32 v1, v83, v164
	v_fmac_f32_e32 v83, -0.5, v80
	v_sub_f32_e32 v80, v5, v165
	v_mov_b32_e32 v5, v83
	v_fmac_f32_e32 v5, 0xbf5db3d7, v80
	v_fmac_f32_e32 v83, 0x3f5db3d7, v80
	v_mul_u32_u24_e32 v80, 0x5a, v141
	v_add_lshl_u32 v20, v80, v142, 3
	v_mul_u32_u24_e32 v80, 0x5a, v139
	buffer_store_dword v20, off, s[24:27], 0 offset:388 ; 4-byte Folded Spill
	ds_write2_b64 v20, v[118:119], v[120:121] offset1:30
	ds_write_b64 v20, v[116:117] offset:480
	v_add_lshl_u32 v20, v80, v140, 3
	v_mul_u32_u24_e32 v80, 0x5a, v137
	buffer_store_dword v20, off, s[24:27], 0 offset:392 ; 4-byte Folded Spill
	ds_write2_b64 v20, v[112:113], v[114:115] offset1:30
	ds_write_b64 v20, v[94:95] offset:480
	v_add_lshl_u32 v20, v80, v138, 3
	v_mad_legacy_u16 v80, v134, s3, v135
	ds_write2_b64 v20, v[108:109], v[110:111] offset1:30
	buffer_store_dword v20, off, s[24:27], 0 offset:412 ; 4-byte Folded Spill
	ds_write_b64 v20, v[106:107] offset:480
	v_lshlrev_b32_e32 v20, 3, v80
	ds_write_b64 v20, v[2:3] offset:480
	v_mad_legacy_u16 v2, v122, s3, v124
	v_lshlrev_b32_e32 v2, 3, v2
	ds_write2_b64 v20, v[102:103], v[104:105] offset1:30
	buffer_store_dword v20, off, s[24:27], 0 offset:424 ; 4-byte Folded Spill
	buffer_store_dword v2, off, s[24:27], 0 offset:420 ; 4-byte Folded Spill
	ds_write2_b64 v2, v[98:99], v[100:101] offset1:30
	ds_write_b64 v2, v[96:97] offset:480
	v_mad_legacy_u16 v2, v123, s3, v125
	v_lshlrev_b32_e32 v2, 3, v2
	buffer_store_dword v2, off, s[24:27], 0 offset:416 ; 4-byte Folded Spill
	ds_write2_b64 v2, v[88:89], v[92:93] offset1:30
	ds_write_b64 v2, v[90:91] offset:480
	v_mad_legacy_u16 v2, v126, s3, v128
	v_lshlrev_b32_e32 v2, 3, v2
	;; [unrolled: 5-line block ×4, first 2 shown]
	buffer_store_dword v2, off, s[24:27], 0 offset:404 ; 4-byte Folded Spill
	ds_write2_b64 v2, v[8:9], v[10:11] offset1:30
	ds_write_b64 v2, v[6:7] offset:480
	v_mad_legacy_u16 v2, v131, s3, v133
	v_add_f32_e32 v0, v0, v165
	v_add_f32_e32 v1, v1, v166
	v_lshlrev_b32_e32 v2, 3, v2
	buffer_store_dword v2, off, s[24:27], 0 offset:408 ; 4-byte Folded Spill
	ds_write2_b64 v2, v[0:1], v[4:5] offset1:30
	ds_write_b64 v2, v[82:83] offset:480
	s_waitcnt vmcnt(0) lgkmcnt(0)
	s_barrier
	ds_read2_b64 v[132:135], v247 offset1:81
	ds_read2_b64 v[16:19], v223 offset0:42 offset1:123
	ds_read2_b64 v[86:89], v217 offset0:84 offset1:165
	;; [unrolled: 1-line block ×12, first 2 shown]
	global_load_dwordx4 v[80:83], v181, s[10:11] offset:640
	s_movk_i32 s3, 0xb7
	ds_read2_b64 v[4:7], v170 offset0:92 offset1:173
	v_mov_b32_e32 v23, v167
	ds_read2_b64 v[8:11], v168 offset0:50 offset1:131
	v_mov_b32_e32 v20, v169
	v_mov_b32_e32 v253, v20
	s_waitcnt vmcnt(0) lgkmcnt(13)
	v_mul_f32_e32 v12, v17, v81
	v_fma_f32 v14, v16, v80, -v12
	s_waitcnt lgkmcnt(12)
	v_mul_f32_e32 v12, v87, v83
	v_fma_f32 v15, v86, v82, -v12
	v_add_co_u32_e32 v12, vcc, -9, v209
	v_addc_co_u32_e64 v13, s[4:5], 0, -1, vcc
	v_cmp_gt_u16_e32 vcc, 9, v209
	v_cndmask_b32_e32 v13, v13, v136, vcc
	v_cndmask_b32_e32 v12, v12, v177, vcc
	v_lshlrev_b64 v[84:85], 4, v[12:13]
	v_mul_f32_e32 v16, v16, v81
	v_add_co_u32_e32 v84, vcc, s10, v84
	v_fmac_f32_e32 v16, v17, v80
	v_mul_f32_e32 v17, v86, v83
	v_addc_co_u32_e32 v85, vcc, v225, v85, vcc
	v_fmac_f32_e32 v17, v87, v82
	global_load_dwordx4 v[84:87], v[84:85], off offset:640
	s_waitcnt vmcnt(0)
	v_mul_f32_e32 v13, v19, v85
	v_fma_f32 v13, v18, v84, -v13
	v_mul_f32_e32 v136, v18, v85
	v_mul_f32_e32 v18, v89, v87
	v_fma_f32 v137, v88, v86, -v18
	v_mul_lo_u16_sdwa v18, v178, s3 dst_sel:DWORD dst_unused:UNUSED_PAD src0_sel:BYTE_0 src1_sel:DWORD
	v_lshrrev_b16_e32 v182, 14, v18
	v_mul_lo_u16_e32 v18, 0x5a, v182
	v_sub_u16_e32 v18, v178, v18
	v_and_b32_e32 v183, 0xff, v18
	v_mul_f32_e32 v138, v88, v87
	v_lshlrev_b32_e32 v18, 4, v183
	v_fmac_f32_e32 v138, v89, v86
	global_load_dwordx4 v[88:91], v18, s[10:11] offset:640
	s_movk_i32 s3, 0x2d83
	v_fmac_f32_e32 v136, v19, v84
	s_waitcnt vmcnt(0) lgkmcnt(10)
	v_mul_f32_e32 v18, v95, v89
	v_fma_f32 v139, v94, v88, -v18
	s_waitcnt lgkmcnt(9)
	v_mul_f32_e32 v18, v99, v91
	v_fma_f32 v141, v98, v90, -v18
	v_mul_u32_u24_sdwa v18, v220, s3 dst_sel:DWORD dst_unused:UNUSED_PAD src0_sel:WORD_0 src1_sel:DWORD
	v_lshrrev_b32_e32 v174, 20, v18
	v_mul_lo_u16_e32 v18, 0x5a, v174
	v_sub_u16_e32 v175, v220, v18
	v_lshlrev_b16_e32 v18, 4, v175
	v_add_co_u32_e32 v18, vcc, s10, v18
	v_mul_f32_e32 v140, v94, v89
	v_addc_co_u32_e32 v19, vcc, 0, v225, vcc
	v_fmac_f32_e32 v140, v95, v88
	global_load_dwordx4 v[92:95], v[18:19], off offset:640
	v_mul_f32_e32 v142, v98, v91
	v_fmac_f32_e32 v142, v99, v90
	s_waitcnt vmcnt(0)
	v_mul_f32_e32 v18, v97, v93
	v_fma_f32 v143, v96, v92, -v18
	v_mul_f32_e32 v18, v101, v95
	v_fma_f32 v184, v100, v94, -v18
	v_mul_u32_u24_sdwa v18, v218, s3 dst_sel:DWORD dst_unused:UNUSED_PAD src0_sel:WORD_0 src1_sel:DWORD
	v_lshrrev_b32_e32 v170, 20, v18
	v_mul_lo_u16_e32 v18, 0x5a, v170
	v_sub_u16_e32 v171, v218, v18
	v_lshlrev_b16_e32 v18, 4, v171
	v_add_co_u32_e32 v18, vcc, s10, v18
	v_mul_f32_e32 v147, v96, v93
	v_addc_co_u32_e32 v19, vcc, 0, v225, vcc
	v_fmac_f32_e32 v147, v97, v92
	global_load_dwordx4 v[96:99], v[18:19], off offset:640
	v_mul_f32_e32 v185, v100, v95
	v_fmac_f32_e32 v185, v101, v94
	s_waitcnt vmcnt(0) lgkmcnt(7)
	v_mul_f32_e32 v18, v103, v97
	v_fma_f32 v186, v102, v96, -v18
	s_waitcnt lgkmcnt(6)
	v_mul_f32_e32 v18, v107, v99
	v_fma_f32 v188, v106, v98, -v18
	v_mul_u32_u24_sdwa v18, v251, s3 dst_sel:DWORD dst_unused:UNUSED_PAD src0_sel:WORD_0 src1_sel:DWORD
	v_lshrrev_b32_e32 v165, 20, v18
	v_mul_lo_u16_e32 v18, 0x5a, v165
	v_sub_u16_e32 v167, v251, v18
	v_lshlrev_b16_e32 v18, 4, v167
	v_add_co_u32_e32 v18, vcc, s10, v18
	v_mul_f32_e32 v187, v102, v97
	v_addc_co_u32_e32 v19, vcc, 0, v225, vcc
	v_fmac_f32_e32 v187, v103, v96
	global_load_dwordx4 v[100:103], v[18:19], off offset:640
	v_mul_f32_e32 v189, v106, v99
	v_fmac_f32_e32 v189, v107, v98
	s_waitcnt vmcnt(0)
	v_mul_f32_e32 v18, v105, v101
	v_fma_f32 v190, v104, v100, -v18
	v_mul_f32_e32 v18, v109, v103
	v_fma_f32 v192, v108, v102, -v18
	v_mul_u32_u24_sdwa v18, v249, s3 dst_sel:DWORD dst_unused:UNUSED_PAD src0_sel:WORD_0 src1_sel:DWORD
	v_lshrrev_b32_e32 v172, 20, v18
	v_mul_lo_u16_e32 v18, 0x5a, v172
	v_sub_u16_e32 v173, v249, v18
	v_lshlrev_b16_e32 v18, 4, v173
	v_add_co_u32_e32 v18, vcc, s10, v18
	v_mul_f32_e32 v191, v104, v101
	v_addc_co_u32_e32 v19, vcc, 0, v225, vcc
	v_fmac_f32_e32 v191, v105, v100
	global_load_dwordx4 v[104:107], v[18:19], off offset:640
	v_mul_f32_e32 v193, v108, v103
	;; [unrolled: 35-line block ×3, first 2 shown]
	v_fmac_f32_e32 v201, v117, v110
	s_waitcnt vmcnt(0) lgkmcnt(0)
	v_mul_f32_e32 v18, v9, v113
	v_fma_f32 v202, v8, v112, -v18
	v_mul_f32_e32 v203, v8, v113
	v_mul_f32_e32 v8, v5, v115
	v_fma_f32 v204, v4, v114, -v8
	v_mul_f32_e32 v205, v4, v115
	v_mul_u32_u24_sdwa v4, v248, s3 dst_sel:DWORD dst_unused:UNUSED_PAD src0_sel:WORD_0 src1_sel:DWORD
	v_lshrrev_b32_e32 v4, 20, v4
	v_mul_lo_u16_e32 v4, 0x5a, v4
	v_sub_u16_e32 v19, v248, v4
	v_lshlrev_b16_e32 v4, 4, v19
	v_add_co_u32_e32 v4, vcc, s10, v4
	v_fmac_f32_e32 v205, v5, v114
	v_addc_co_u32_e32 v5, vcc, 0, v225, vcc
	global_load_dwordx4 v[116:119], v[4:5], off offset:640
	v_fmac_f32_e32 v203, v9, v112
	v_cmp_lt_u16_e32 vcc, 8, v209
	s_waitcnt vmcnt(0)
	s_barrier
	s_movk_i32 s3, 0x10e
	v_mul_f32_e32 v4, v11, v117
	v_fma_f32 v5, v10, v116, -v4
	v_mul_f32_e32 v4, v7, v119
	v_fma_f32 v207, v6, v118, -v4
	v_add_f32_e32 v4, v132, v14
	v_add_f32_e32 v160, v4, v15
	v_add_f32_e32 v4, v14, v15
	v_fma_f32 v158, -0.5, v4, v132
	v_sub_f32_e32 v4, v16, v17
	v_mov_b32_e32 v162, v158
	v_fmac_f32_e32 v162, 0x3f5db3d7, v4
	v_fmac_f32_e32 v158, 0xbf5db3d7, v4
	v_add_f32_e32 v4, v133, v16
	v_add_f32_e32 v161, v4, v17
	v_add_f32_e32 v4, v16, v17
	v_fma_f32 v159, -0.5, v4, v133
	v_sub_f32_e32 v4, v14, v15
	v_mov_b32_e32 v163, v159
	v_fmac_f32_e32 v163, 0xbf5db3d7, v4
	v_fmac_f32_e32 v159, 0x3f5db3d7, v4
	v_add_f32_e32 v4, v134, v13
	v_add_f32_e32 v154, v4, v137
	v_add_f32_e32 v4, v13, v137
	v_fma_f32 v134, -0.5, v4, v134
	v_sub_f32_e32 v4, v136, v138
	v_mov_b32_e32 v156, v134
	v_fmac_f32_e32 v156, 0x3f5db3d7, v4
	v_fmac_f32_e32 v134, 0xbf5db3d7, v4
	v_add_f32_e32 v4, v135, v136
	v_add_f32_e32 v155, v4, v138
	v_add_f32_e32 v4, v136, v138
	v_fmac_f32_e32 v135, -0.5, v4
	v_sub_f32_e32 v4, v13, v137
	v_mov_b32_e32 v157, v135
	v_fmac_f32_e32 v157, 0xbf5db3d7, v4
	v_fmac_f32_e32 v135, 0x3f5db3d7, v4
	v_add_f32_e32 v4, v128, v139
	v_add_f32_e32 v150, v4, v141
	v_add_f32_e32 v4, v139, v141
	v_fma_f32 v148, -0.5, v4, v128
	v_sub_f32_e32 v4, v140, v142
	v_mov_b32_e32 v152, v148
	v_fmac_f32_e32 v152, 0x3f5db3d7, v4
	v_fmac_f32_e32 v148, 0xbf5db3d7, v4
	v_add_f32_e32 v4, v129, v140
	v_add_f32_e32 v151, v4, v142
	v_add_f32_e32 v4, v140, v142
	v_fma_f32 v149, -0.5, v4, v129
	v_sub_f32_e32 v4, v139, v141
	v_mov_b32_e32 v153, v149
	v_fmac_f32_e32 v153, 0xbf5db3d7, v4
	v_fmac_f32_e32 v149, 0x3f5db3d7, v4
	v_add_f32_e32 v4, v130, v143
	v_add_f32_e32 v144, v4, v184
	v_add_f32_e32 v4, v143, v184
	v_fma_f32 v130, -0.5, v4, v130
	v_sub_f32_e32 v4, v147, v185
	v_mov_b32_e32 v146, v130
	v_fmac_f32_e32 v146, 0x3f5db3d7, v4
	v_fmac_f32_e32 v130, 0xbf5db3d7, v4
	v_add_f32_e32 v4, v131, v147
	v_add_f32_e32 v145, v4, v185
	v_add_f32_e32 v4, v147, v185
	v_fmac_f32_e32 v131, -0.5, v4
	v_sub_f32_e32 v4, v143, v184
	v_mov_b32_e32 v147, v131
	v_fmac_f32_e32 v147, 0xbf5db3d7, v4
	v_fmac_f32_e32 v131, 0x3f5db3d7, v4
	v_add_f32_e32 v4, v0, v186
	v_add_f32_e32 v140, v4, v188
	v_add_f32_e32 v4, v186, v188
	v_fma_f32 v138, -0.5, v4, v0
	v_sub_f32_e32 v0, v187, v189
	v_mov_b32_e32 v142, v138
	v_fmac_f32_e32 v142, 0x3f5db3d7, v0
	v_fmac_f32_e32 v138, 0xbf5db3d7, v0
	v_add_f32_e32 v0, v1, v187
	v_add_f32_e32 v141, v0, v189
	v_add_f32_e32 v0, v187, v189
	v_fma_f32 v139, -0.5, v0, v1
	v_sub_f32_e32 v0, v186, v188
	v_mov_b32_e32 v143, v139
	v_fmac_f32_e32 v143, 0xbf5db3d7, v0
	v_fmac_f32_e32 v139, 0x3f5db3d7, v0
	v_add_f32_e32 v0, v2, v190
	v_add_f32_e32 v132, v0, v192
	v_add_f32_e32 v0, v190, v192
	v_fma_f32 v2, -0.5, v0, v2
	v_sub_f32_e32 v0, v191, v193
	v_mov_b32_e32 v136, v2
	v_fmac_f32_e32 v136, 0x3f5db3d7, v0
	v_fmac_f32_e32 v2, 0xbf5db3d7, v0
	v_add_f32_e32 v0, v3, v191
	v_add_f32_e32 v133, v0, v193
	v_add_f32_e32 v0, v191, v193
	v_fmac_f32_e32 v3, -0.5, v0
	v_sub_f32_e32 v0, v190, v192
	v_mov_b32_e32 v137, v3
	v_fmac_f32_e32 v137, 0xbf5db3d7, v0
	v_fmac_f32_e32 v3, 0x3f5db3d7, v0
	v_add_f32_e32 v0, v124, v194
	v_add_f32_e32 v128, v0, v196
	v_add_f32_e32 v0, v194, v196
	v_fma_f32 v17, -0.5, v0, v124
	v_sub_f32_e32 v0, v195, v197
	v_mov_b32_e32 v124, v17
	v_fmac_f32_e32 v124, 0x3f5db3d7, v0
	v_fmac_f32_e32 v17, 0xbf5db3d7, v0
	v_add_f32_e32 v0, v125, v195
	v_add_f32_e32 v129, v0, v197
	v_add_f32_e32 v0, v195, v197
	v_fma_f32 v18, -0.5, v0, v125
	v_sub_f32_e32 v0, v194, v196
	v_mov_b32_e32 v125, v18
	v_fmac_f32_e32 v125, 0xbf5db3d7, v0
	v_fmac_f32_e32 v18, 0x3f5db3d7, v0
	v_add_f32_e32 v0, v126, v198
	v_add_f32_e32 v13, v0, v200
	v_add_f32_e32 v0, v198, v200
	v_fma_f32 v126, -0.5, v0, v126
	v_sub_f32_e32 v0, v199, v201
	v_mov_b32_e32 v15, v126
	v_fmac_f32_e32 v15, 0x3f5db3d7, v0
	v_fmac_f32_e32 v126, 0xbf5db3d7, v0
	v_add_f32_e32 v0, v127, v199
	v_add_f32_e32 v14, v0, v201
	v_add_f32_e32 v0, v199, v201
	v_fmac_f32_e32 v127, -0.5, v0
	v_sub_f32_e32 v0, v198, v200
	v_mov_b32_e32 v16, v127
	v_fmac_f32_e32 v16, 0xbf5db3d7, v0
	v_fmac_f32_e32 v127, 0x3f5db3d7, v0
	v_add_f32_e32 v0, v120, v202
	v_add_f32_e32 v8, v0, v204
	;; [unrolled: 1-line block ×3, first 2 shown]
	v_mul_f32_e32 v208, v6, v119
	v_fma_f32 v6, -0.5, v0, v120
	v_mul_f32_e32 v206, v10, v117
	v_sub_f32_e32 v0, v203, v205
	v_mov_b32_e32 v10, v6
	v_fmac_f32_e32 v10, 0x3f5db3d7, v0
	v_fmac_f32_e32 v6, 0xbf5db3d7, v0
	v_add_f32_e32 v0, v121, v203
	v_add_f32_e32 v9, v0, v205
	;; [unrolled: 1-line block ×3, first 2 shown]
	v_fmac_f32_e32 v208, v7, v118
	v_fma_f32 v7, -0.5, v0, v121
	v_fmac_f32_e32 v206, v11, v116
	v_sub_f32_e32 v0, v202, v204
	v_mov_b32_e32 v11, v7
	v_add_f32_e32 v1, v5, v207
	v_fmac_f32_e32 v11, 0xbf5db3d7, v0
	v_fmac_f32_e32 v7, 0x3f5db3d7, v0
	v_add_f32_e32 v0, v122, v5
	v_fma_f32 v122, -0.5, v1, v122
	v_sub_f32_e32 v1, v206, v208
	v_mov_b32_e32 v4, v122
	v_add_f32_e32 v120, v206, v208
	v_fmac_f32_e32 v4, 0x3f5db3d7, v1
	v_fmac_f32_e32 v122, 0xbf5db3d7, v1
	v_add_f32_e32 v1, v123, v206
	v_fmac_f32_e32 v123, -0.5, v120
	v_sub_f32_e32 v120, v5, v207
	v_mov_b32_e32 v5, v123
	v_fmac_f32_e32 v5, 0xbf5db3d7, v120
	v_fmac_f32_e32 v123, 0x3f5db3d7, v120
	v_mov_b32_e32 v120, 0x10e
	v_cndmask_b32_e32 v120, 0, v120, vcc
	v_add_lshl_u32 v12, v12, v120, 3
	ds_write2_b64 v247, v[160:161], v[162:163] offset1:90
	ds_write_b64 v247, v[158:159] offset:1440
	buffer_store_dword v12, off, s[24:27], 0 offset:436 ; 4-byte Folded Spill
	ds_write2_b64 v12, v[154:155], v[156:157] offset1:90
	ds_write_b64 v12, v[134:135] offset:1440
	v_mul_u32_u24_e32 v12, 0x10e, v182
	v_add_lshl_u32 v12, v12, v183, 3
	buffer_store_dword v12, off, s[24:27], 0 offset:440 ; 4-byte Folded Spill
	ds_write2_b64 v12, v[150:151], v[152:153] offset1:90
	ds_write_b64 v12, v[148:149] offset:1440
	v_mad_legacy_u16 v12, v174, s3, v175
	v_lshlrev_b32_e32 v12, 3, v12
	buffer_store_dword v12, off, s[24:27], 0 offset:444 ; 4-byte Folded Spill
	ds_write2_b64 v12, v[144:145], v[146:147] offset1:90
	ds_write_b64 v12, v[130:131] offset:1440
	v_mad_legacy_u16 v12, v170, s3, v171
	v_lshlrev_b32_e32 v12, 3, v12
	;; [unrolled: 5-line block ×6, first 2 shown]
	buffer_store_dword v2, off, s[24:27], 0 offset:464 ; 4-byte Folded Spill
	ds_write2_b64 v2, v[8:9], v[10:11] offset1:90
	ds_write_b64 v2, v[6:7] offset:1440
	v_lshlrev_b32_e32 v2, 3, v19
	v_add_f32_e32 v0, v0, v207
	v_add_f32_e32 v1, v1, v208
	v_add_u32_e32 v3, 0x4000, v2
	buffer_store_dword v2, off, s[24:27], 0 offset:472 ; 4-byte Folded Spill
	buffer_store_dword v3, off, s[24:27], 0 offset:468 ; 4-byte Folded Spill
	ds_write2_b64 v3, v[0:1], v[4:5] offset0:112 offset1:202
	ds_write_b64 v2, v[122:123] offset:18720
	s_waitcnt vmcnt(0) lgkmcnt(0)
	s_barrier
	ds_read2_b64 v[0:3], v247 offset1:81
	ds_read2_b64 v[4:7], v223 offset0:42 offset1:123
	ds_read2_b64 v[9:12], v217 offset0:84 offset1:165
	;; [unrolled: 1-line block ×13, first 2 shown]
	global_load_dwordx4 v[120:123], v181, s[10:11] offset:2080
	s_movk_i32 s3, 0xffe5
	v_mov_b32_e32 v20, v209
	ds_read2_b64 v[192:195], v21 offset0:92 offset1:173
	buffer_store_dword v20, off, s[24:27], 0 offset:496 ; 4-byte Folded Spill
	v_mov_b32_e32 v22, v234
	v_mov_b32_e32 v21, v223
	s_waitcnt vmcnt(1) lgkmcnt(13)
	v_mul_f32_e32 v8, v5, v121
	v_fma_f32 v184, v4, v120, -v8
	v_mul_f32_e32 v186, v4, v121
	s_waitcnt lgkmcnt(12)
	v_mul_f32_e32 v4, v10, v123
	v_fma_f32 v185, v9, v122, -v4
	v_lshlrev_b32_e32 v4, 4, v177
	global_load_dwordx4 v[128:131], v4, s[10:11] offset:2080
	v_mul_f32_e32 v187, v9, v123
	v_add_co_u32_e32 v227, vcc, s10, v4
	v_fmac_f32_e32 v187, v10, v122
	v_addc_co_u32_e32 v228, vcc, 0, v225, vcc
	v_fmac_f32_e32 v186, v5, v120
	s_waitcnt vmcnt(0)
	v_mul_f32_e32 v4, v7, v129
	v_fma_f32 v10, v6, v128, -v4
	v_mul_f32_e32 v4, v12, v131
	v_fma_f32 v16, v11, v130, -v4
	v_lshlrev_b32_e32 v4, 4, v178
	global_load_dwordx4 v[124:127], v4, s[10:11] offset:2080
	v_add_co_u32_e32 v19, vcc, s10, v4
	v_addc_co_u32_e32 v226, vcc, 0, v225, vcc
	v_mul_f32_e32 v18, v11, v131
	v_mul_f32_e32 v14, v6, v129
	v_fmac_f32_e32 v14, v7, v128
	v_fmac_f32_e32 v18, v12, v130
	s_waitcnt vmcnt(0) lgkmcnt(10)
	v_mul_f32_e32 v4, v135, v125
	v_fma_f32 v8, v134, v124, -v4
	s_waitcnt lgkmcnt(9)
	v_mul_f32_e32 v4, v139, v127
	v_fma_f32 v11, v138, v126, -v4
	v_add_co_u32_e32 v4, vcc, s3, v209
	v_addc_co_u32_e64 v5, s[4:5], 0, -1, vcc
	v_cmp_gt_u16_e32 vcc, 27, v209
	v_cndmask_b32_e32 v7, v5, v176, vcc
	v_cndmask_b32_e32 v6, v4, v220, vcc
	v_lshlrev_b64 v[4:5], 4, v[6:7]
	v_mul_f32_e32 v9, v134, v125
	v_add_co_u32_e32 v4, vcc, s10, v4
	v_addc_co_u32_e32 v5, vcc, v225, v5, vcc
	v_fmac_f32_e32 v9, v135, v124
	global_load_dwordx4 v[132:135], v[4:5], off offset:2080
	v_mul_f32_e32 v15, v138, v127
	v_fmac_f32_e32 v15, v139, v126
	s_movk_i32 s3, 0x795d
	s_waitcnt vmcnt(0)
	v_mul_f32_e32 v4, v137, v133
	v_mul_f32_e32 v12, v136, v133
	v_fma_f32 v7, v136, v132, -v4
	v_fmac_f32_e32 v12, v137, v132
	global_load_dwordx4 v[136:139], v181, s[10:11] offset:2944
	v_mul_f32_e32 v4, v141, v135
	v_fma_f32 v13, v140, v134, -v4
	v_mul_f32_e32 v17, v140, v135
	v_fmac_f32_e32 v17, v141, v134
	s_waitcnt vmcnt(0) lgkmcnt(7)
	v_mul_f32_e32 v4, v143, v137
	v_fma_f32 v181, v142, v136, -v4
	s_waitcnt lgkmcnt(6)
	v_mul_f32_e32 v4, v147, v139
	v_fma_f32 v182, v146, v138, -v4
	v_add_co_u32_e32 v4, vcc, s2, v179
	v_mul_f32_e32 v177, v142, v137
	v_addc_co_u32_e32 v5, vcc, 0, v180, vcc
	v_fmac_f32_e32 v177, v143, v136
	global_load_dwordx4 v[140:143], v[4:5], off offset:144
	v_mul_f32_e32 v183, v146, v139
	v_fmac_f32_e32 v183, v147, v138
	s_waitcnt vmcnt(0)
	v_mul_f32_e32 v146, v145, v141
	v_fma_f32 v211, v144, v140, -v146
	v_mul_f32_e32 v219, v144, v141
	v_mul_f32_e32 v144, v149, v143
	v_fma_f32 v221, v148, v142, -v144
	v_mul_u32_u24_sdwa v144, v249, s3 dst_sel:DWORD dst_unused:UNUSED_PAD src0_sel:WORD_0 src1_sel:DWORD
	v_lshrrev_b32_e32 v209, 23, v144
	v_mul_lo_u16_e32 v144, 0x10e, v209
	v_sub_u16_e32 v210, v249, v144
	v_lshlrev_b16_e32 v144, 4, v210
	v_add_co_u32_e32 v144, vcc, s10, v144
	v_fmac_f32_e32 v219, v145, v140
	v_addc_co_u32_e32 v145, vcc, 0, v225, vcc
	global_load_dwordx4 v[144:147], v[144:145], off offset:2080
	v_mul_f32_e32 v239, v148, v143
	v_fmac_f32_e32 v239, v149, v142
	s_waitcnt vmcnt(0) lgkmcnt(4)
	v_mul_f32_e32 v148, v151, v145
	v_fma_f32 v212, v150, v144, -v148
	s_waitcnt lgkmcnt(3)
	v_mul_f32_e32 v148, v155, v147
	v_fma_f32 v235, v154, v146, -v148
	v_mul_u32_u24_sdwa v148, v230, s3 dst_sel:DWORD dst_unused:UNUSED_PAD src0_sel:WORD_0 src1_sel:DWORD
	v_lshrrev_b32_e32 v148, 23, v148
	v_mul_lo_u16_e32 v148, 0x10e, v148
	v_sub_u16_e32 v208, v230, v148
	v_lshlrev_b16_e32 v148, 4, v208
	v_add_co_u32_e32 v148, vcc, s10, v148
	v_mul_f32_e32 v222, v150, v145
	v_addc_co_u32_e32 v149, vcc, 0, v225, vcc
	v_fmac_f32_e32 v222, v151, v144
	global_load_dwordx4 v[148:151], v[148:149], off offset:2080
	v_mul_f32_e32 v240, v154, v147
	v_fmac_f32_e32 v240, v155, v146
	s_waitcnt vmcnt(0)
	v_mul_f32_e32 v154, v153, v149
	v_fma_f32 v213, v152, v148, -v154
	v_mul_f32_e32 v224, v152, v149
	v_mul_f32_e32 v152, v157, v151
	v_fma_f32 v236, v156, v150, -v152
	v_mul_u32_u24_sdwa v152, v250, s3 dst_sel:DWORD dst_unused:UNUSED_PAD src0_sel:WORD_0 src1_sel:DWORD
	v_lshrrev_b32_e32 v152, 23, v152
	v_mul_lo_u16_e32 v152, 0x10e, v152
	v_sub_u16_e32 v207, v250, v152
	v_lshlrev_b16_e32 v152, 4, v207
	v_add_co_u32_e32 v152, vcc, s10, v152
	v_fmac_f32_e32 v224, v153, v148
	v_addc_co_u32_e32 v153, vcc, 0, v225, vcc
	global_load_dwordx4 v[152:155], v[152:153], off offset:2080
	v_mul_f32_e32 v241, v156, v151
	v_fmac_f32_e32 v241, v157, v150
	s_waitcnt vmcnt(0) lgkmcnt(1)
	v_mul_f32_e32 v156, v189, v153
	v_fma_f32 v214, v188, v152, -v156
	s_waitcnt lgkmcnt(0)
	v_mul_f32_e32 v156, v193, v155
	v_fma_f32 v237, v192, v154, -v156
	v_mul_u32_u24_sdwa v156, v248, s3 dst_sel:DWORD dst_unused:UNUSED_PAD src0_sel:WORD_0 src1_sel:DWORD
	v_lshrrev_b32_e32 v156, 23, v156
	v_mul_lo_u16_e32 v156, 0x10e, v156
	v_sub_u16_e32 v206, v248, v156
	v_lshlrev_b16_e32 v156, 4, v206
	v_add_co_u32_e32 v156, vcc, s10, v156
	v_addc_co_u32_e32 v157, vcc, 0, v225, vcc
	global_load_dwordx4 v[156:159], v[156:157], off offset:2080
	v_mul_f32_e32 v242, v192, v155
	v_fmac_f32_e32 v242, v193, v154
	v_mul_f32_e32 v229, v188, v153
	v_fmac_f32_e32 v229, v189, v152
	s_waitcnt vmcnt(0)
	s_barrier
	v_cmp_lt_u16_e32 vcc, 26, v20
	v_mov_b32_e32 v20, v233
	v_mul_f32_e32 v176, v191, v157
	v_fma_f32 v215, v190, v156, -v176
	v_mul_f32_e32 v176, v195, v159
	v_fma_f32 v238, v194, v158, -v176
	v_add_f32_e32 v176, v0, v184
	v_mul_f32_e32 v231, v190, v157
	v_add_f32_e32 v190, v176, v185
	v_add_f32_e32 v176, v184, v185
	v_fma_f32 v192, -0.5, v176, v0
	v_mul_f32_e32 v243, v194, v159
	v_sub_f32_e32 v0, v186, v187
	v_mov_b32_e32 v194, v192
	v_fmac_f32_e32 v194, 0x3f5db3d7, v0
	v_fmac_f32_e32 v192, 0xbf5db3d7, v0
	v_add_f32_e32 v0, v1, v186
	v_fmac_f32_e32 v231, v191, v156
	v_add_f32_e32 v191, v0, v187
	v_add_f32_e32 v0, v186, v187
	v_fma_f32 v193, -0.5, v0, v1
	v_fmac_f32_e32 v243, v195, v158
	v_sub_f32_e32 v0, v184, v185
	v_mov_b32_e32 v195, v193
	v_fmac_f32_e32 v195, 0xbf5db3d7, v0
	v_fmac_f32_e32 v193, 0x3f5db3d7, v0
	v_add_f32_e32 v0, v2, v10
	v_add_f32_e32 v204, v0, v16
	v_add_f32_e32 v0, v10, v16
	v_fma_f32 v2, -0.5, v0, v2
	v_sub_f32_e32 v0, v14, v18
	v_mov_b32_e32 v198, v2
	v_fmac_f32_e32 v198, 0x3f5db3d7, v0
	v_fmac_f32_e32 v2, 0xbf5db3d7, v0
	v_add_f32_e32 v0, v3, v14
	v_add_f32_e32 v205, v0, v18
	v_add_f32_e32 v0, v14, v18
	v_fmac_f32_e32 v3, -0.5, v0
	v_sub_f32_e32 v0, v10, v16
	v_mov_b32_e32 v199, v3
	v_fmac_f32_e32 v199, 0xbf5db3d7, v0
	v_fmac_f32_e32 v3, 0x3f5db3d7, v0
	v_add_f32_e32 v0, v172, v8
	v_add_f32_e32 v200, v0, v11
	v_add_f32_e32 v0, v8, v11
	v_fma_f32 v196, -0.5, v0, v172
	v_sub_f32_e32 v0, v9, v15
	v_mov_b32_e32 v202, v196
	v_fmac_f32_e32 v202, 0x3f5db3d7, v0
	v_fmac_f32_e32 v196, 0xbf5db3d7, v0
	v_add_f32_e32 v0, v173, v9
	v_add_f32_e32 v201, v0, v15
	v_add_f32_e32 v0, v9, v15
	v_fma_f32 v197, -0.5, v0, v173
	v_sub_f32_e32 v0, v8, v11
	v_mov_b32_e32 v203, v197
	v_fmac_f32_e32 v203, 0xbf5db3d7, v0
	v_fmac_f32_e32 v197, 0x3f5db3d7, v0
	v_add_f32_e32 v0, v174, v7
	v_add_f32_e32 v186, v0, v13
	v_add_f32_e32 v0, v7, v13
	v_fma_f32 v174, -0.5, v0, v174
	v_sub_f32_e32 v0, v12, v17
	v_mov_b32_e32 v188, v174
	v_fmac_f32_e32 v188, 0x3f5db3d7, v0
	v_fmac_f32_e32 v174, 0xbf5db3d7, v0
	v_add_f32_e32 v0, v175, v12
	v_add_f32_e32 v187, v0, v17
	v_add_f32_e32 v0, v12, v17
	v_fmac_f32_e32 v175, -0.5, v0
	v_sub_f32_e32 v0, v7, v13
	v_mov_b32_e32 v189, v175
	v_fmac_f32_e32 v189, 0xbf5db3d7, v0
	v_fmac_f32_e32 v175, 0x3f5db3d7, v0
	v_add_f32_e32 v0, v168, v181
	v_add_f32_e32 v178, v0, v182
	v_add_f32_e32 v0, v181, v182
	v_fma_f32 v176, -0.5, v0, v168
	v_sub_f32_e32 v0, v177, v183
	v_mov_b32_e32 v180, v176
	v_fmac_f32_e32 v180, 0x3f5db3d7, v0
	v_fmac_f32_e32 v176, 0xbf5db3d7, v0
	v_add_f32_e32 v0, v169, v177
	v_add_f32_e32 v179, v0, v183
	v_add_f32_e32 v0, v177, v183
	v_fma_f32 v177, -0.5, v0, v169
	;; [unrolled: 32-line block ×3, first 2 shown]
	v_sub_f32_e32 v0, v212, v235
	v_mov_b32_e32 v169, v165
	v_fmac_f32_e32 v169, 0xbf5db3d7, v0
	v_fmac_f32_e32 v165, 0x3f5db3d7, v0
	v_add_f32_e32 v0, v166, v213
	v_add_f32_e32 v15, v0, v236
	;; [unrolled: 1-line block ×3, first 2 shown]
	v_fma_f32 v166, -0.5, v0, v166
	v_sub_f32_e32 v0, v224, v241
	v_mov_b32_e32 v17, v166
	v_fmac_f32_e32 v17, 0x3f5db3d7, v0
	v_fmac_f32_e32 v166, 0xbf5db3d7, v0
	v_add_f32_e32 v0, v167, v224
	v_add_f32_e32 v16, v0, v241
	;; [unrolled: 1-line block ×3, first 2 shown]
	v_fmac_f32_e32 v167, -0.5, v0
	v_sub_f32_e32 v0, v213, v236
	v_mov_b32_e32 v18, v167
	v_fmac_f32_e32 v18, 0xbf5db3d7, v0
	v_fmac_f32_e32 v167, 0x3f5db3d7, v0
	v_add_f32_e32 v0, v160, v214
	v_add_f32_e32 v11, v0, v237
	;; [unrolled: 1-line block ×3, first 2 shown]
	v_fma_f32 v9, -0.5, v0, v160
	v_sub_f32_e32 v0, v229, v242
	v_mov_b32_e32 v13, v9
	v_fmac_f32_e32 v13, 0x3f5db3d7, v0
	v_fmac_f32_e32 v9, 0xbf5db3d7, v0
	v_add_f32_e32 v0, v161, v229
	v_add_f32_e32 v12, v0, v242
	;; [unrolled: 1-line block ×3, first 2 shown]
	ds_write_b64 v247, v[194:195] offset:2160
	ds_write_b64 v247, v[192:193] offset:4320
	ds_write2_b64 v247, v[190:191], v[204:205] offset1:81
	ds_write_b64 v247, v[200:201] offset:1296
	ds_write2_b64 v234, v[198:199], v[202:203] offset0:95 offset1:176
	ds_write2_b64 v252, v[2:3], v[196:197] offset0:109 offset1:190
	v_mov_b32_e32 v2, 0x32a
	v_fma_f32 v10, -0.5, v0, v161
	v_cndmask_b32_e32 v2, 0, v2, vcc
	v_sub_f32_e32 v0, v214, v237
	v_mov_b32_e32 v14, v10
	v_add_f32_e32 v1, v215, v238
	v_add_lshl_u32 v2, v6, v2, 3
	v_fmac_f32_e32 v14, 0xbf5db3d7, v0
	v_fmac_f32_e32 v10, 0x3f5db3d7, v0
	v_add_f32_e32 v0, v162, v215
	v_fma_f32 v162, -0.5, v1, v162
	ds_write_b64 v2, v[186:187]
	ds_write_b64 v2, v[188:189] offset:2160
	buffer_store_dword v2, off, s[24:27], 0 offset:476 ; 4-byte Folded Spill
	ds_write_b64 v2, v[174:175] offset:4320
	ds_write2_b64 v223, v[178:179], v[182:183] offset0:96 offset1:177
	v_mad_legacy_u16 v2, v209, s16, v210
	v_sub_f32_e32 v1, v231, v243
	v_mov_b32_e32 v7, v162
	v_add_f32_e32 v8, v231, v243
	v_lshlrev_b32_e32 v2, 3, v2
	v_fmac_f32_e32 v7, 0x3f5db3d7, v1
	v_fmac_f32_e32 v162, 0xbf5db3d7, v1
	v_add_f32_e32 v1, v163, v231
	v_fmac_f32_e32 v163, -0.5, v8
	ds_write2_b64 v233, v[180:181], v[184:185] offset0:110 offset1:191
	ds_write2_b64 v232, v[176:177], v[170:171] offset0:124 offset1:205
	ds_write_b64 v2, v[172:173]
	buffer_store_dword v2, off, s[24:27], 0 offset:480 ; 4-byte Folded Spill
	ds_write_b64 v2, v[168:169] offset:2160
	ds_write_b64 v2, v[164:165] offset:4320
	v_lshlrev_b32_e32 v2, 3, v208
	v_sub_f32_e32 v160, v215, v238
	v_mov_b32_e32 v8, v163
	ds_write_b64 v2, v[15:16] offset:12960
	ds_write_b64 v2, v[17:18] offset:15120
	buffer_store_dword v2, off, s[24:27], 0 offset:484 ; 4-byte Folded Spill
	ds_write_b64 v2, v[166:167] offset:17280
	v_lshlrev_b32_e32 v2, 3, v207
	v_add_f32_e32 v0, v0, v238
	v_add_f32_e32 v1, v1, v243
	v_fmac_f32_e32 v8, 0xbf5db3d7, v160
	v_fmac_f32_e32 v163, 0x3f5db3d7, v160
	ds_write_b64 v2, v[11:12] offset:12960
	ds_write_b64 v2, v[13:14] offset:15120
	buffer_store_dword v2, off, s[24:27], 0 offset:488 ; 4-byte Folded Spill
	ds_write_b64 v2, v[9:10] offset:17280
	v_lshlrev_b32_e32 v2, 3, v206
	v_add_u32_e32 v18, 0x3800, v247
	ds_write_b64 v2, v[0:1] offset:12960
	ds_write_b64 v2, v[7:8] offset:15120
	buffer_store_dword v2, off, s[24:27], 0 offset:492 ; 4-byte Folded Spill
	ds_write_b64 v2, v[162:163] offset:17280
	s_waitcnt vmcnt(0) lgkmcnt(0)
	s_barrier
	ds_read2_b64 v[0:3], v247 offset1:81
	ds_read2_b64 v[6:9], v223 offset0:42 offset1:123
	ds_read2_b64 v[10:13], v217 offset0:84 offset1:165
	;; [unrolled: 1-line block ×14, first 2 shown]
	global_load_dwordx4 v[160:163], v[4:5], off offset:2304
	v_mov_b32_e32 v23, v252
	v_mov_b32_e32 v244, v21
	;; [unrolled: 1-line block ×3, first 2 shown]
	s_waitcnt vmcnt(0) lgkmcnt(13)
	v_mul_f32_e32 v4, v7, v161
	v_fma_f32 v240, v6, v160, -v4
	s_waitcnt lgkmcnt(12)
	v_mul_f32_e32 v4, v11, v163
	v_fma_f32 v223, v10, v162, -v4
	v_add_co_u32_e32 v4, vcc, s2, v227
	v_addc_co_u32_e32 v5, vcc, 0, v228, vcc
	global_load_dwordx4 v[164:167], v[4:5], off offset:2304
	v_mul_f32_e32 v6, v6, v161
	v_fmac_f32_e32 v6, v7, v160
	v_mul_f32_e32 v7, v10, v163
	v_fmac_f32_e32 v7, v11, v162
	s_waitcnt vmcnt(0)
	v_mul_f32_e32 v4, v9, v165
	v_fma_f32 v241, v8, v164, -v4
	v_mul_f32_e32 v4, v13, v167
	v_fma_f32 v242, v12, v166, -v4
	v_add_co_u32_e32 v4, vcc, s2, v19
	v_addc_co_u32_e32 v5, vcc, 0, v226, vcc
	global_load_dwordx4 v[168:171], v[4:5], off offset:2304
	v_mul_f32_e32 v11, v8, v165
	v_fmac_f32_e32 v11, v9, v164
	v_mul_f32_e32 v222, v12, v167
	v_fmac_f32_e32 v222, v13, v166
	s_waitcnt vmcnt(0) lgkmcnt(10)
	v_mul_f32_e32 v4, v15, v169
	v_fma_f32 v226, v14, v168, -v4
	s_waitcnt lgkmcnt(9)
	v_mul_f32_e32 v4, v175, v171
	v_fma_f32 v224, v174, v170, -v4
	v_lshlrev_b32_e32 v4, 4, v220
	v_add_co_u32_e32 v4, vcc, s10, v4
	v_addc_co_u32_e32 v5, vcc, 0, v225, vcc
	v_add_co_u32_e32 v4, vcc, s2, v4
	v_mul_f32_e32 v231, v174, v171
	v_addc_co_u32_e32 v5, vcc, 0, v5, vcc
	v_fmac_f32_e32 v231, v175, v170
	global_load_dwordx4 v[172:175], v[4:5], off offset:2304
	v_mul_f32_e32 v243, v14, v169
	v_fmac_f32_e32 v243, v15, v168
	s_waitcnt vmcnt(0)
	v_mul_f32_e32 v4, v17, v173
	v_fma_f32 v19, v16, v172, -v4
	v_mul_f32_e32 v4, v177, v175
	v_fma_f32 v219, v176, v174, -v4
	v_lshlrev_b32_e32 v4, 4, v218
	v_add_co_u32_e32 v4, vcc, s10, v4
	v_addc_co_u32_e32 v5, vcc, 0, v225, vcc
	v_add_co_u32_e32 v4, vcc, s2, v4
	v_mul_f32_e32 v228, v176, v175
	v_addc_co_u32_e32 v5, vcc, 0, v5, vcc
	v_fmac_f32_e32 v228, v177, v174
	global_load_dwordx4 v[176:179], v[4:5], off offset:2304
	v_mul_f32_e32 v227, v16, v173
	v_fmac_f32_e32 v227, v17, v172
	s_waitcnt vmcnt(0) lgkmcnt(7)
	v_mul_f32_e32 v4, v183, v177
	v_fma_f32 v15, v182, v176, -v4
	s_waitcnt lgkmcnt(6)
	v_mul_f32_e32 v4, v187, v179
	v_fma_f32 v218, v186, v178, -v4
	v_lshlrev_b32_e32 v4, 4, v251
	v_add_co_u32_e32 v4, vcc, s10, v4
	v_addc_co_u32_e32 v5, vcc, 0, v225, vcc
	v_add_co_u32_e32 v4, vcc, s2, v4
	v_mul_f32_e32 v220, v182, v177
	v_addc_co_u32_e32 v5, vcc, 0, v5, vcc
	v_fmac_f32_e32 v220, v183, v176
	global_load_dwordx4 v[180:183], v[4:5], off offset:2304
	v_mul_f32_e32 v229, v186, v179
	v_fmac_f32_e32 v229, v187, v178
	s_waitcnt vmcnt(0)
	v_mul_f32_e32 v4, v185, v181
	v_fma_f32 v14, v184, v180, -v4
	v_mul_f32_e32 v4, v189, v183
	v_fma_f32 v221, v188, v182, -v4
	v_lshlrev_b32_e32 v4, 4, v249
	v_add_co_u32_e32 v4, vcc, s10, v4
	v_addc_co_u32_e32 v5, vcc, 0, v225, vcc
	v_add_co_u32_e32 v4, vcc, s2, v4
	v_mul_f32_e32 v18, v184, v181
	v_addc_co_u32_e32 v5, vcc, 0, v5, vcc
	v_fmac_f32_e32 v18, v185, v180
	global_load_dwordx4 v[184:187], v[4:5], off offset:2304
	v_lshlrev_b32_e32 v5, 4, v230
	v_add_co_u32_e32 v5, vcc, s10, v5
	v_addc_co_u32_e32 v10, vcc, 0, v225, vcc
	v_add_co_u32_e32 v9, vcc, s2, v5
	v_mul_f32_e32 v8, v188, v183
	v_addc_co_u32_e32 v10, vcc, 0, v10, vcc
	v_fmac_f32_e32 v8, v189, v182
	s_waitcnt vmcnt(0) lgkmcnt(4)
	v_mul_f32_e32 v4, v191, v185
	v_mul_f32_e32 v17, v190, v185
	v_fma_f32 v16, v190, v184, -v4
	v_fmac_f32_e32 v17, v191, v184
	global_load_dwordx4 v[188:191], v[9:10], off offset:2304
	v_lshlrev_b32_e32 v9, 4, v250
	v_add_co_u32_e32 v9, vcc, s10, v9
	v_addc_co_u32_e32 v13, vcc, 0, v225, vcc
	s_waitcnt lgkmcnt(3)
	v_mul_f32_e32 v4, v195, v187
	v_add_co_u32_e32 v12, vcc, s2, v9
	v_fma_f32 v255, v194, v186, -v4
	v_mul_f32_e32 v4, v194, v187
	v_addc_co_u32_e32 v13, vcc, 0, v13, vcc
	v_fmac_f32_e32 v4, v195, v186
	s_waitcnt vmcnt(0)
	v_mul_f32_e32 v5, v193, v189
	v_mul_f32_e32 v251, v192, v189
	v_fma_f32 v10, v192, v188, -v5
	v_fmac_f32_e32 v251, v193, v188
	global_load_dwordx4 v[192:195], v[12:13], off offset:2304
	v_mul_f32_e32 v5, v197, v191
	v_fma_f32 v253, v196, v190, -v5
	v_mul_f32_e32 v5, v196, v191
	v_fmac_f32_e32 v5, v197, v190
	s_waitcnt vmcnt(0) lgkmcnt(0)
	v_mul_f32_e32 v13, v237, v195
	v_fma_f32 v250, v236, v194, -v13
	v_lshlrev_b32_e32 v13, 4, v248
	v_add_co_u32_e32 v13, vcc, s10, v13
	v_addc_co_u32_e32 v197, vcc, 0, v225, vcc
	v_add_co_u32_e32 v196, vcc, s2, v13
	v_addc_co_u32_e32 v197, vcc, 0, v197, vcc
	global_load_dwordx4 v[196:199], v[196:197], off offset:2304
	v_mul_f32_e32 v9, v233, v193
	v_fma_f32 v9, v232, v192, -v9
	v_mul_f32_e32 v12, v232, v193
	v_mul_f32_e32 v254, v236, v195
	v_fmac_f32_e32 v12, v233, v192
	v_fmac_f32_e32 v254, v237, v194
	s_movk_i32 s2, 0x4bf0
	s_waitcnt vmcnt(0)
	v_mul_f32_e32 v225, v239, v199
	v_fma_f32 v249, v238, v198, -v225
	v_add_f32_e32 v225, v0, v240
	v_mul_f32_e32 v13, v235, v197
	v_add_f32_e32 v232, v225, v223
	v_add_f32_e32 v225, v240, v223
	v_fma_f32 v13, v234, v196, -v13
	v_mul_f32_e32 v248, v234, v197
	v_fma_f32 v234, -0.5, v225, v0
	v_sub_f32_e32 v0, v6, v7
	v_mov_b32_e32 v236, v234
	v_fmac_f32_e32 v236, 0x3f5db3d7, v0
	v_fmac_f32_e32 v234, 0xbf5db3d7, v0
	v_add_f32_e32 v0, v1, v6
	v_add_f32_e32 v233, v0, v7
	;; [unrolled: 1-line block ×3, first 2 shown]
	v_fmac_f32_e32 v248, v235, v196
	v_fma_f32 v235, -0.5, v0, v1
	v_sub_f32_e32 v0, v240, v223
	v_mov_b32_e32 v237, v235
	v_fmac_f32_e32 v237, 0xbf5db3d7, v0
	v_fmac_f32_e32 v235, 0x3f5db3d7, v0
	v_add_f32_e32 v0, v2, v241
	v_mul_f32_e32 v252, v238, v199
	v_add_f32_e32 v238, v0, v242
	v_add_f32_e32 v0, v241, v242
	v_fma_f32 v2, -0.5, v0, v2
	v_sub_f32_e32 v0, v11, v222
	v_mov_b32_e32 v240, v2
	v_fmac_f32_e32 v240, 0x3f5db3d7, v0
	v_fmac_f32_e32 v2, 0xbf5db3d7, v0
	v_add_f32_e32 v0, v3, v11
	v_fmac_f32_e32 v252, v239, v198
	v_add_f32_e32 v239, v0, v222
	v_add_f32_e32 v0, v11, v222
	v_fmac_f32_e32 v3, -0.5, v0
	v_sub_f32_e32 v0, v241, v242
	v_mov_b32_e32 v241, v3
	v_fmac_f32_e32 v241, 0xbf5db3d7, v0
	v_fmac_f32_e32 v3, 0x3f5db3d7, v0
	v_add_f32_e32 v0, v212, v226
	v_add_f32_e32 v222, v0, v224
	v_add_f32_e32 v0, v226, v224
	v_fma_f32 v230, -0.5, v0, v212
	v_sub_f32_e32 v0, v243, v231
	v_mov_b32_e32 v242, v230
	v_fmac_f32_e32 v242, 0x3f5db3d7, v0
	v_fmac_f32_e32 v230, 0xbf5db3d7, v0
	v_add_f32_e32 v0, v213, v243
	v_add_f32_e32 v223, v0, v231
	v_add_f32_e32 v0, v243, v231
	v_fma_f32 v231, -0.5, v0, v213
	v_sub_f32_e32 v0, v226, v224
	v_mov_b32_e32 v243, v231
	v_fmac_f32_e32 v243, 0xbf5db3d7, v0
	v_fmac_f32_e32 v231, 0x3f5db3d7, v0
	v_add_f32_e32 v0, v214, v19
	v_add_f32_e32 v224, v0, v219
	v_add_f32_e32 v0, v19, v219
	v_fma_f32 v214, -0.5, v0, v214
	v_sub_f32_e32 v0, v227, v228
	v_mov_b32_e32 v226, v214
	v_fmac_f32_e32 v226, 0x3f5db3d7, v0
	v_fmac_f32_e32 v214, 0xbf5db3d7, v0
	v_add_f32_e32 v0, v215, v227
	v_add_f32_e32 v225, v0, v228
	v_add_f32_e32 v0, v227, v228
	v_fmac_f32_e32 v215, -0.5, v0
	v_sub_f32_e32 v0, v19, v219
	v_mov_b32_e32 v227, v215
	v_fmac_f32_e32 v227, 0xbf5db3d7, v0
	v_fmac_f32_e32 v215, 0x3f5db3d7, v0
	v_add_f32_e32 v0, v208, v15
	v_add_f32_e32 v212, v0, v218
	v_add_f32_e32 v0, v15, v218
	v_fma_f32 v208, -0.5, v0, v208
	v_sub_f32_e32 v0, v220, v229
	v_mov_b32_e32 v228, v208
	v_fmac_f32_e32 v228, 0x3f5db3d7, v0
	v_fmac_f32_e32 v208, 0xbf5db3d7, v0
	v_add_f32_e32 v0, v209, v220
	v_add_f32_e32 v213, v0, v229
	v_add_f32_e32 v0, v220, v229
	v_fma_f32 v209, -0.5, v0, v209
	v_sub_f32_e32 v0, v15, v218
	v_mov_b32_e32 v229, v209
	v_fmac_f32_e32 v229, 0xbf5db3d7, v0
	v_fmac_f32_e32 v209, 0x3f5db3d7, v0
	v_add_f32_e32 v0, v210, v14
	v_add_f32_e32 v218, v0, v221
	v_add_f32_e32 v0, v14, v221
	v_fma_f32 v210, -0.5, v0, v210
	v_sub_f32_e32 v0, v18, v8
	v_mov_b32_e32 v220, v210
	v_fmac_f32_e32 v220, 0x3f5db3d7, v0
	v_fmac_f32_e32 v210, 0xbf5db3d7, v0
	v_add_f32_e32 v0, v211, v18
	;; [unrolled: 32-line block ×3, first 2 shown]
	v_add_f32_e32 v17, v0, v5
	v_add_f32_e32 v0, v251, v5
	v_fmac_f32_e32 v207, -0.5, v0
	v_sub_f32_e32 v0, v10, v253
	v_mov_b32_e32 v5, v207
	v_fmac_f32_e32 v5, 0xbf5db3d7, v0
	v_fmac_f32_e32 v207, 0x3f5db3d7, v0
	v_add_f32_e32 v0, v200, v9
	v_add_f32_e32 v6, v0, v250
	;; [unrolled: 1-line block ×3, first 2 shown]
	v_fma_f32 v0, -0.5, v0, v200
	v_sub_f32_e32 v1, v12, v254
	v_mov_b32_e32 v8, v0
	v_fmac_f32_e32 v8, 0x3f5db3d7, v1
	v_fmac_f32_e32 v0, 0xbf5db3d7, v1
	v_add_f32_e32 v1, v201, v12
	v_add_f32_e32 v7, v1, v254
	;; [unrolled: 1-line block ×3, first 2 shown]
	v_fma_f32 v1, -0.5, v1, v201
	v_sub_f32_e32 v10, v9, v250
	v_mov_b32_e32 v9, v1
	v_add_f32_e32 v11, v13, v249
	v_fmac_f32_e32 v9, 0xbf5db3d7, v10
	v_fmac_f32_e32 v1, 0x3f5db3d7, v10
	v_add_f32_e32 v10, v202, v13
	v_fma_f32 v202, -0.5, v11, v202
	v_sub_f32_e32 v11, v248, v252
	v_mov_b32_e32 v12, v202
	v_add_f32_e32 v200, v248, v252
	v_fmac_f32_e32 v12, 0x3f5db3d7, v11
	v_fmac_f32_e32 v202, 0xbf5db3d7, v11
	v_add_f32_e32 v11, v203, v248
	v_fmac_f32_e32 v203, -0.5, v200
	v_sub_f32_e32 v200, v13, v249
	v_add_f32_e32 v11, v11, v252
	v_mov_b32_e32 v13, v203
	v_fmac_f32_e32 v203, 0x3f5db3d7, v200
	ds_write_b64 v247, v[236:237] offset:6480
	ds_write_b64 v247, v[234:235] offset:12960
	ds_write2_b64 v247, v[232:233], v[238:239] offset1:81
	ds_write2_b64 v21, v[240:241], v[242:243] offset0:123 offset1:204
	ds_write2_b64 v217, v[2:3], v[230:231] offset0:165 offset1:246
	;; [unrolled: 1-line block ×4, first 2 shown]
	v_add_u32_e32 v252, 0x3800, v247
	v_add_u32_e32 v2, 0x2400, v247
	;; [unrolled: 1-line block ×5, first 2 shown]
	v_add_f32_e32 v10, v10, v249
	v_fmac_f32_e32 v13, 0xbf5db3d7, v200
	ds_write2_b64 v252, v[214:215], v[208:209] offset0:71 offset1:152
	ds_write2_b64 v22, v[212:213], v[218:219] offset0:68 offset1:149
	;; [unrolled: 1-line block ×3, first 2 shown]
	v_mov_b32_e32 v253, v2
	ds_write2_b64 v243, v[210:211], v[18:19] offset0:105 offset1:186
	ds_write2_b64 v216, v[14:15], v[16:17] offset0:102 offset1:183
	ds_write_b64 v247, v[206:207] offset:17496
	ds_write2_b64 v21, v[4:5], v[8:9] offset0:97 offset1:178
	ds_write2_b64 v23, v[6:7], v[10:11] offset0:136 offset1:217
	ds_write_b64 v247, v[12:13] offset:12312
	ds_write2_b64 v20, v[0:1], v[202:203] offset0:92 offset1:173
	s_waitcnt lgkmcnt(0)
	s_barrier
	ds_read2_b64 v[0:3], v247 offset1:81
	buffer_load_dword v9, off, s[24:27], 0 offset:508 ; 4-byte Folded Reload
	buffer_load_dword v4, off, s[24:27], 0 offset:500 ; 4-byte Folded Reload
	;; [unrolled: 1-line block ×3, first 2 shown]
	v_mov_b32_e32 v18, v216
	v_mov_b32_e32 v255, v18
	v_add_u32_e32 v250, 0x1c00, v247
	v_mov_b32_e32 v251, v217
	v_add_u32_e32 v249, 0x2c00, v247
	v_mov_b32_e32 v254, v23
	v_mov_b32_e32 v248, v22
	s_waitcnt vmcnt(2)
	v_add_co_u32_e32 v210, vcc, s2, v9
	s_waitcnt vmcnt(0)
	global_load_dwordx2 v[4:5], v[4:5], off offset:3056
	v_addc_co_u32_e32 v211, vcc, 0, v245, vcc
	s_movk_i32 s2, 0x6000
	s_waitcnt vmcnt(0) lgkmcnt(0)
	v_mul_f32_e32 v6, v1, v5
	v_mul_f32_e32 v7, v0, v5
	v_fma_f32 v6, v0, v4, -v6
	v_fmac_f32_e32 v7, v1, v4
	global_load_dwordx2 v[0:1], v[210:211], off offset:1944
	ds_write_b64 v247, v[6:7]
	ds_read2_b64 v[14:17], v247 offset0:162 offset1:243
	ds_read2_b64 v[213:216], v216 offset0:102 offset1:183
	;; [unrolled: 1-line block ×6, first 2 shown]
	v_add_u32_e32 v22, 0x3400, v247
	s_waitcnt vmcnt(0) lgkmcnt(5)
	v_mul_f32_e32 v4, v17, v1
	v_mul_f32_e32 v234, v16, v1
	v_fma_f32 v233, v16, v0, -v4
	v_fmac_f32_e32 v234, v17, v0
	global_load_dwordx2 v[0:1], v[210:211], off offset:3888
	v_mov_b32_e32 v17, v9
	v_add_co_u32_e32 v18, vcc, s2, v17
	v_addc_co_u32_e32 v19, vcc, 0, v245, vcc
	s_movk_i32 s2, 0x7000
	v_add_co_u32_e32 v200, vcc, s2, v17
	v_addc_co_u32_e32 v201, vcc, 0, v245, vcc
	s_mov_b32 s2, 0x8000
	v_add_co_u32_e32 v202, vcc, s2, v17
	v_addc_co_u32_e32 v203, vcc, 0, v245, vcc
	s_mov_b32 s2, 0x9000
	v_add_co_u32_e32 v16, vcc, s2, v17
	s_movk_i32 s2, 0x5000
	s_waitcnt vmcnt(0) lgkmcnt(4)
	v_mul_f32_e32 v4, v214, v1
	v_fma_f32 v212, v213, v0, -v4
	v_mul_f32_e32 v213, v213, v1
	v_fmac_f32_e32 v213, v214, v0
	global_load_dwordx2 v[0:1], v[18:19], off offset:696
	ds_read2_b64 v[4:7], v23 offset0:136 offset1:217
	v_add_u32_e32 v23, 0x4000, v247
	s_waitcnt vmcnt(0) lgkmcnt(0)
	v_mul_f32_e32 v8, v7, v1
	v_mul_f32_e32 v236, v6, v1
	v_fma_f32 v235, v6, v0, -v8
	v_fmac_f32_e32 v236, v7, v0
	global_load_dwordx2 v[0:1], v[18:19], off offset:2640
	s_waitcnt vmcnt(0)
	v_mul_f32_e32 v6, v218, v1
	v_mul_f32_e32 v205, v217, v1
	v_fma_f32 v204, v217, v0, -v6
	v_fmac_f32_e32 v205, v218, v0
	global_load_dwordx2 v[0:1], v[200:201], off offset:488
	ds_read2_b64 v[6:9], v246 offset0:110 offset1:191
	v_mov_b32_e32 v217, v17
	v_addc_co_u32_e32 v17, vcc, 0, v245, vcc
	s_waitcnt vmcnt(0) lgkmcnt(0)
	v_mul_f32_e32 v10, v9, v1
	v_mul_f32_e32 v238, v8, v1
	v_fma_f32 v237, v8, v0, -v10
	v_fmac_f32_e32 v238, v9, v0
	global_load_dwordx2 v[0:1], v[200:201], off offset:2432
	s_waitcnt vmcnt(0)
	v_mul_f32_e32 v8, v222, v1
	v_mul_f32_e32 v207, v221, v1
	v_fma_f32 v206, v221, v0, -v8
	v_fmac_f32_e32 v207, v222, v0
	global_load_dwordx2 v[0:1], v[202:203], off offset:280
	ds_read2_b64 v[8:11], v251 offset0:84 offset1:165
	s_waitcnt vmcnt(0) lgkmcnt(0)
	v_mul_f32_e32 v12, v11, v1
	v_mul_f32_e32 v240, v10, v1
	v_fma_f32 v239, v10, v0, -v12
	v_fmac_f32_e32 v240, v11, v0
	global_load_dwordx2 v[0:1], v[202:203], off offset:2224
	s_waitcnt vmcnt(0)
	v_mul_f32_e32 v10, v226, v1
	v_mul_f32_e32 v209, v225, v1
	v_fma_f32 v208, v225, v0, -v10
	v_fmac_f32_e32 v209, v226, v0
	global_load_dwordx2 v[0:1], v[16:17], off offset:72
	ds_read2_b64 v[10:13], v23 offset0:58 offset1:139
	s_waitcnt vmcnt(0) lgkmcnt(0)
	v_mul_f32_e32 v214, v13, v1
	v_mul_f32_e32 v242, v12, v1
	v_fma_f32 v241, v12, v0, -v214
	v_fmac_f32_e32 v242, v13, v0
	global_load_dwordx2 v[0:1], v[210:211], off offset:648
	s_waitcnt vmcnt(0)
	v_mul_f32_e32 v12, v3, v1
	v_mul_f32_e32 v13, v2, v1
	v_fma_f32 v12, v2, v0, -v12
	v_fmac_f32_e32 v13, v3, v0
	global_load_dwordx2 v[0:1], v[210:211], off offset:2592
	s_waitcnt vmcnt(0)
	v_mul_f32_e32 v2, v230, v1
	v_mul_f32_e32 v3, v229, v1
	v_fma_f32 v2, v229, v0, -v2
	v_fmac_f32_e32 v3, v230, v0
	v_add_u32_e32 v0, 0x400, v247
	ds_write2_b64 v0, v[233:234], v[2:3] offset0:115 offset1:196
	v_add_co_u32_e32 v0, vcc, s2, v217
	v_addc_co_u32_e32 v1, vcc, 0, v245, vcc
	global_load_dwordx2 v[0:1], v[0:1], off offset:3496
	s_mov_b32 s2, 0x40e53dbc
	s_mov_b32 s3, 0x3f3af834
	s_waitcnt vmcnt(0)
	v_mul_f32_e32 v2, v216, v1
	v_mul_f32_e32 v230, v215, v1
	v_fma_f32 v229, v215, v0, -v2
	v_fmac_f32_e32 v230, v216, v0
	global_load_dwordx2 v[0:1], v[18:19], off offset:1344
	ds_read2_b64 v[214:217], v244 offset0:42 offset1:123
	s_waitcnt vmcnt(0) lgkmcnt(0)
	v_mul_f32_e32 v2, v215, v1
	v_mul_f32_e32 v3, v214, v1
	v_fma_f32 v2, v214, v0, -v2
	v_fmac_f32_e32 v3, v215, v0
	v_add_u32_e32 v0, 0x1400, v247
	ds_write2_b64 v0, v[235:236], v[2:3] offset0:89 offset1:170
	global_load_dwordx2 v[0:1], v[18:19], off offset:3288
	v_mov_b32_e32 v236, v20
	s_waitcnt vmcnt(0)
	v_mul_f32_e32 v2, v220, v1
	v_mul_f32_e32 v215, v219, v1
	v_fma_f32 v214, v219, v0, -v2
	v_fmac_f32_e32 v215, v220, v0
	global_load_dwordx2 v[0:1], v[200:201], off offset:1136
	ds_read2_b64 v[218:221], v21 offset0:16 offset1:97
	s_waitcnt vmcnt(0) lgkmcnt(0)
	v_mul_f32_e32 v2, v219, v1
	v_mul_f32_e32 v3, v218, v1
	v_fma_f32 v2, v218, v0, -v2
	v_fmac_f32_e32 v3, v219, v0
	global_load_dwordx2 v[0:1], v[200:201], off offset:3080
	ds_write2_b64 v253, v[237:238], v[2:3] offset0:63 offset1:144
	v_mov_b32_e32 v237, v23
	s_waitcnt vmcnt(0)
	v_mul_f32_e32 v2, v224, v1
	v_mul_f32_e32 v219, v223, v1
	v_fma_f32 v218, v223, v0, -v2
	v_fmac_f32_e32 v219, v224, v0
	global_load_dwordx2 v[0:1], v[202:203], off offset:928
	ds_read2_b64 v[222:225], v22 offset0:118 offset1:199
	s_waitcnt vmcnt(0) lgkmcnt(0)
	v_mul_f32_e32 v2, v223, v1
	v_mul_f32_e32 v3, v222, v1
	v_fma_f32 v2, v222, v0, -v2
	v_fmac_f32_e32 v3, v223, v0
	global_load_dwordx2 v[0:1], v[202:203], off offset:2872
	ds_write2_b64 v251, v[239:240], v[2:3] offset0:165 offset1:246
	s_waitcnt vmcnt(0)
	v_mul_f32_e32 v2, v228, v1
	v_fma_f32 v222, v227, v0, -v2
	v_mul_f32_e32 v223, v227, v1
	global_load_dwordx2 v[226:227], v[16:17], off offset:720
	v_fmac_f32_e32 v223, v228, v0
	ds_read2_b64 v[0:3], v20 offset0:92 offset1:173
	s_waitcnt vmcnt(0) lgkmcnt(0)
	v_mul_f32_e32 v228, v1, v227
	v_mul_f32_e32 v234, v0, v227
	v_fma_f32 v233, v0, v226, -v228
	v_fmac_f32_e32 v234, v1, v226
	global_load_dwordx2 v[0:1], v[210:211], off offset:1296
	ds_write2_b64 v23, v[241:242], v[233:234] offset0:139 offset1:220
	v_mov_b32_e32 v23, v244
	s_waitcnt vmcnt(0)
	v_mul_f32_e32 v226, v15, v1
	v_mul_f32_e32 v227, v14, v1
	v_fma_f32 v226, v14, v0, -v226
	v_fmac_f32_e32 v227, v15, v0
	global_load_dwordx2 v[0:1], v[210:211], off offset:3240
	ds_write2_b64 v247, v[12:13], v[226:227] offset0:81 offset1:162
	s_waitcnt vmcnt(0)
	v_mul_f32_e32 v12, v232, v1
	v_mul_f32_e32 v13, v231, v1
	v_fma_f32 v12, v231, v0, -v12
	v_fmac_f32_e32 v13, v232, v0
	global_load_dwordx2 v[0:1], v[18:19], off offset:48
	ds_write2_b64 v248, v[12:13], v[212:213] offset0:149 offset1:230
	;; [unrolled: 7-line block ×9, first 2 shown]
	s_waitcnt vmcnt(0)
	v_mul_f32_e32 v4, v3, v1
	v_mul_f32_e32 v5, v2, v1
	v_fma_f32 v4, v2, v0, -v4
	v_fmac_f32_e32 v5, v3, v0
	ds_write_b64 v247, v[4:5] offset:18792
	s_waitcnt lgkmcnt(0)
	s_barrier
	ds_read2_b64 v[224:227], v247 offset1:81
	ds_read2_b64 v[200:203], v247 offset0:162 offset1:243
	ds_read2_b64 v[228:231], v255 offset0:102 offset1:183
	;; [unrolled: 1-line block ×11, first 2 shown]
	s_waitcnt lgkmcnt(9)
	v_add_f32_e32 v4, v224, v228
	s_waitcnt lgkmcnt(7)
	v_add_f32_e32 v4, v4, v232
	;; [unrolled: 2-line block ×4, first 2 shown]
	v_add_f32_e32 v4, v232, v238
	v_fma_f32 v4, -0.5, v4, v224
	v_sub_f32_e32 v10, v229, v243
	v_mov_b32_e32 v248, v4
	v_mov_b32_e32 v246, v23
	ds_read2_b64 v[212:215], v21 offset0:16 offset1:97
	ds_read2_b64 v[216:219], v22 offset0:118 offset1:199
	;; [unrolled: 1-line block ×3, first 2 shown]
	v_fmac_f32_e32 v248, 0xbf737871, v10
	v_sub_f32_e32 v11, v233, v239
	v_sub_f32_e32 v236, v228, v232
	;; [unrolled: 1-line block ×3, first 2 shown]
	v_fmac_f32_e32 v4, 0x3f737871, v10
	v_fmac_f32_e32 v248, 0xbf167918, v11
	v_add_f32_e32 v236, v236, v237
	v_fmac_f32_e32 v4, 0x3f167918, v11
	v_fmac_f32_e32 v248, 0x3e9e377a, v236
	;; [unrolled: 1-line block ×3, first 2 shown]
	v_add_f32_e32 v236, v228, v242
	v_fma_f32 v249, -0.5, v236, v224
	v_mov_b32_e32 v250, v249
	v_fmac_f32_e32 v250, 0x3f737871, v11
	v_fmac_f32_e32 v249, 0xbf737871, v11
	;; [unrolled: 1-line block ×4, first 2 shown]
	v_add_f32_e32 v10, v225, v229
	v_add_f32_e32 v10, v10, v233
	;; [unrolled: 1-line block ×5, first 2 shown]
	v_sub_f32_e32 v224, v232, v228
	v_sub_f32_e32 v236, v238, v242
	v_fma_f32 v251, -0.5, v10, v225
	v_add_f32_e32 v224, v224, v236
	v_sub_f32_e32 v10, v228, v242
	v_mov_b32_e32 v228, v251
	v_fmac_f32_e32 v250, 0x3e9e377a, v224
	v_fmac_f32_e32 v249, 0x3e9e377a, v224
	;; [unrolled: 1-line block ×3, first 2 shown]
	v_sub_f32_e32 v11, v232, v238
	v_sub_f32_e32 v224, v229, v233
	;; [unrolled: 1-line block ×3, first 2 shown]
	v_fmac_f32_e32 v251, 0xbf737871, v10
	v_fmac_f32_e32 v228, 0x3f167918, v11
	v_add_f32_e32 v224, v224, v232
	v_fmac_f32_e32 v251, 0xbf167918, v11
	v_fmac_f32_e32 v228, 0x3e9e377a, v224
	;; [unrolled: 1-line block ×3, first 2 shown]
	v_add_f32_e32 v224, v229, v243
	v_fma_f32 v232, -0.5, v224, v225
	v_mov_b32_e32 v242, v232
	v_fmac_f32_e32 v242, 0xbf737871, v11
	v_fmac_f32_e32 v232, 0x3f737871, v11
	;; [unrolled: 1-line block ×4, first 2 shown]
	v_add_f32_e32 v10, v202, v14
	v_add_f32_e32 v10, v10, v222
	;; [unrolled: 1-line block ×3, first 2 shown]
	v_sub_f32_e32 v224, v233, v229
	s_waitcnt lgkmcnt(5)
	v_add_f32_e32 v229, v10, v8
	v_add_f32_e32 v10, v222, v18
	v_sub_f32_e32 v225, v239, v243
	v_fma_f32 v233, -0.5, v10, v202
	v_add_f32_e32 v224, v224, v225
	v_sub_f32_e32 v10, v15, v9
	v_mov_b32_e32 v11, v233
	v_fmac_f32_e32 v242, 0x3e9e377a, v224
	v_fmac_f32_e32 v232, 0x3e9e377a, v224
	;; [unrolled: 1-line block ×3, first 2 shown]
	v_sub_f32_e32 v224, v223, v19
	v_sub_f32_e32 v225, v14, v222
	;; [unrolled: 1-line block ×3, first 2 shown]
	v_fmac_f32_e32 v233, 0x3f737871, v10
	v_fmac_f32_e32 v11, 0xbf167918, v224
	v_add_f32_e32 v225, v225, v236
	v_fmac_f32_e32 v233, 0x3f167918, v224
	v_fmac_f32_e32 v11, 0x3e9e377a, v225
	;; [unrolled: 1-line block ×3, first 2 shown]
	v_add_f32_e32 v225, v14, v8
	v_fma_f32 v202, -0.5, v225, v202
	v_mov_b32_e32 v225, v202
	v_fmac_f32_e32 v225, 0x3f737871, v224
	v_fmac_f32_e32 v202, 0xbf737871, v224
	;; [unrolled: 1-line block ×4, first 2 shown]
	v_add_f32_e32 v10, v203, v15
	v_add_f32_e32 v10, v10, v223
	;; [unrolled: 1-line block ×3, first 2 shown]
	v_sub_f32_e32 v236, v222, v14
	v_sub_f32_e32 v237, v18, v8
	v_add_f32_e32 v239, v10, v9
	v_add_f32_e32 v10, v223, v19
	;; [unrolled: 1-line block ×3, first 2 shown]
	v_fma_f32 v237, -0.5, v10, v203
	v_sub_f32_e32 v2, v14, v8
	v_mov_b32_e32 v14, v237
	v_fmac_f32_e32 v14, 0x3f737871, v2
	v_sub_f32_e32 v0, v222, v18
	v_sub_f32_e32 v10, v15, v223
	;; [unrolled: 1-line block ×3, first 2 shown]
	v_fmac_f32_e32 v237, 0xbf737871, v2
	v_fmac_f32_e32 v14, 0x3f167918, v0
	v_add_f32_e32 v10, v10, v222
	v_fmac_f32_e32 v237, 0xbf167918, v0
	v_fmac_f32_e32 v14, 0x3e9e377a, v10
	;; [unrolled: 1-line block ×3, first 2 shown]
	v_add_f32_e32 v10, v15, v9
	v_fma_f32 v203, -0.5, v10, v203
	v_mov_b32_e32 v238, v203
	v_fmac_f32_e32 v238, 0xbf737871, v0
	v_sub_f32_e32 v10, v223, v15
	v_sub_f32_e32 v3, v19, v9
	v_fmac_f32_e32 v238, 0x3f167918, v2
	v_add_f32_e32 v3, v10, v3
	v_fmac_f32_e32 v203, 0x3f737871, v0
	v_fmac_f32_e32 v238, 0x3e9e377a, v3
	;; [unrolled: 1-line block ×5, first 2 shown]
	v_mul_f32_e32 v3, 0xbf737871, v238
	v_fmac_f32_e32 v3, 0x3e9e377a, v225
	v_fmac_f32_e32 v202, 0x3e9e377a, v236
	v_add_f32_e32 v222, v250, v3
	v_mul_f32_e32 v15, 0xbf737871, v203
	v_mul_f32_e32 v243, 0xbf167918, v237
	;; [unrolled: 1-line block ×4, first 2 shown]
	v_sub_f32_e32 v254, v250, v3
	v_add_f32_e32 v3, v234, v240
	v_mul_f32_e32 v2, 0xbf167918, v14
	v_fmac_f32_e32 v15, 0xbe9e377a, v202
	v_fmac_f32_e32 v243, 0xbf4f1bbd, v233
	;; [unrolled: 1-line block ×3, first 2 shown]
	v_mul_f32_e32 v14, 0x3e9e377a, v238
	v_fmac_f32_e32 v203, 0x3f737871, v202
	v_mul_f32_e32 v202, 0xbf4f1bbd, v237
	v_fma_f32 v3, -0.5, v3, v226
	v_add_f32_e32 v8, v5, v229
	v_fmac_f32_e32 v2, 0x3f4f1bbd, v11
	v_add_f32_e32 v236, v4, v243
	v_fmac_f32_e32 v14, 0x3f737871, v225
	v_fmac_f32_e32 v202, 0x3f167918, v233
	v_sub_f32_e32 v238, v5, v229
	v_sub_f32_e32 v250, v4, v243
	;; [unrolled: 1-line block ×3, first 2 shown]
	v_mov_b32_e32 v5, v3
	v_add_f32_e32 v10, v248, v2
	v_add_f32_e32 v224, v249, v15
	;; [unrolled: 1-line block ×6, first 2 shown]
	v_sub_f32_e32 v252, v248, v2
	v_sub_f32_e32 v248, v249, v15
	;; [unrolled: 1-line block ×6, first 2 shown]
	v_fmac_f32_e32 v5, 0xbf737871, v4
	v_sub_f32_e32 v14, v235, v241
	v_sub_f32_e32 v15, v230, v234
	;; [unrolled: 1-line block ×3, first 2 shown]
	v_fmac_f32_e32 v3, 0x3f737871, v4
	v_fmac_f32_e32 v5, 0xbf167918, v14
	v_add_f32_e32 v15, v15, v202
	v_fmac_f32_e32 v3, 0x3f167918, v14
	v_fmac_f32_e32 v5, 0x3e9e377a, v15
	;; [unrolled: 1-line block ×3, first 2 shown]
	v_add_f32_e32 v15, v230, v244
	v_fma_f32 v15, -0.5, v15, v226
	v_mov_b32_e32 v202, v15
	v_fmac_f32_e32 v202, 0x3f737871, v14
	v_fmac_f32_e32 v15, 0xbf737871, v14
	;; [unrolled: 1-line block ×4, first 2 shown]
	v_add_f32_e32 v4, v227, v231
	v_add_f32_e32 v225, v232, v203
	v_sub_f32_e32 v249, v232, v203
	v_add_f32_e32 v2, v226, v230
	v_sub_f32_e32 v203, v234, v230
	v_sub_f32_e32 v226, v240, v244
	v_add_f32_e32 v4, v4, v235
	v_add_f32_e32 v203, v203, v226
	;; [unrolled: 1-line block ×4, first 2 shown]
	v_fmac_f32_e32 v202, 0x3e9e377a, v203
	v_fmac_f32_e32 v15, 0x3e9e377a, v203
	v_add_f32_e32 v203, v4, v245
	v_add_f32_e32 v4, v235, v241
	;; [unrolled: 1-line block ×3, first 2 shown]
	v_fma_f32 v226, -0.5, v4, v227
	v_add_f32_e32 v2, v2, v244
	v_sub_f32_e32 v4, v230, v244
	v_mov_b32_e32 v244, v226
	v_fmac_f32_e32 v244, 0x3f737871, v4
	v_sub_f32_e32 v14, v234, v240
	v_sub_f32_e32 v228, v231, v235
	;; [unrolled: 1-line block ×3, first 2 shown]
	v_fmac_f32_e32 v226, 0xbf737871, v4
	v_fmac_f32_e32 v244, 0x3f167918, v14
	v_add_f32_e32 v228, v228, v229
	v_fmac_f32_e32 v226, 0xbf167918, v14
	v_fmac_f32_e32 v244, 0x3e9e377a, v228
	;; [unrolled: 1-line block ×3, first 2 shown]
	v_add_f32_e32 v228, v231, v245
	v_fmac_f32_e32 v227, -0.5, v228
	v_mov_b32_e32 v0, v227
	v_fmac_f32_e32 v0, 0xbf737871, v14
	v_fmac_f32_e32 v227, 0x3f737871, v14
	;; [unrolled: 1-line block ×4, first 2 shown]
	s_waitcnt lgkmcnt(1)
	v_add_f32_e32 v4, v212, v216
	v_sub_f32_e32 v1, v235, v231
	v_sub_f32_e32 v18, v241, v245
	v_fma_f32 v4, -0.5, v4, v204
	v_add_f32_e32 v1, v1, v18
	s_waitcnt lgkmcnt(0)
	v_sub_f32_e32 v14, v209, v21
	v_mov_b32_e32 v18, v4
	v_fmac_f32_e32 v18, 0xbf737871, v14
	v_sub_f32_e32 v19, v213, v217
	v_sub_f32_e32 v228, v208, v212
	;; [unrolled: 1-line block ×3, first 2 shown]
	v_fmac_f32_e32 v4, 0x3f737871, v14
	v_fmac_f32_e32 v18, 0xbf167918, v19
	v_add_f32_e32 v228, v228, v229
	v_fmac_f32_e32 v4, 0x3f167918, v19
	v_fmac_f32_e32 v18, 0x3e9e377a, v228
	;; [unrolled: 1-line block ×3, first 2 shown]
	v_add_f32_e32 v228, v208, v20
	v_fmac_f32_e32 v0, 0x3e9e377a, v1
	v_fmac_f32_e32 v227, 0x3e9e377a, v1
	v_add_f32_e32 v1, v204, v208
	v_fma_f32 v204, -0.5, v228, v204
	v_mov_b32_e32 v229, v204
	v_add_f32_e32 v1, v1, v212
	v_fmac_f32_e32 v229, 0x3f737871, v19
	v_fmac_f32_e32 v204, 0xbf737871, v19
	v_add_f32_e32 v19, v213, v217
	v_add_f32_e32 v1, v1, v216
	v_sub_f32_e32 v228, v212, v208
	v_sub_f32_e32 v230, v216, v20
	v_fma_f32 v19, -0.5, v19, v205
	v_add_f32_e32 v1, v1, v20
	v_fmac_f32_e32 v229, 0xbf167918, v14
	v_add_f32_e32 v228, v228, v230
	v_fmac_f32_e32 v204, 0x3f167918, v14
	v_sub_f32_e32 v20, v208, v20
	v_mov_b32_e32 v208, v19
	v_fmac_f32_e32 v229, 0x3e9e377a, v228
	v_fmac_f32_e32 v204, 0x3e9e377a, v228
	;; [unrolled: 1-line block ×3, first 2 shown]
	v_sub_f32_e32 v212, v212, v216
	v_sub_f32_e32 v216, v209, v213
	;; [unrolled: 1-line block ×3, first 2 shown]
	v_fmac_f32_e32 v19, 0xbf737871, v20
	v_add_f32_e32 v14, v205, v209
	v_fmac_f32_e32 v208, 0x3f167918, v212
	v_add_f32_e32 v216, v216, v228
	;; [unrolled: 2-line block ×3, first 2 shown]
	v_fmac_f32_e32 v208, 0x3e9e377a, v216
	v_fmac_f32_e32 v19, 0x3e9e377a, v216
	v_add_f32_e32 v216, v209, v21
	v_add_f32_e32 v14, v14, v217
	v_fma_f32 v205, -0.5, v216, v205
	v_add_f32_e32 v14, v14, v21
	v_mov_b32_e32 v216, v205
	v_sub_f32_e32 v209, v213, v209
	v_sub_f32_e32 v21, v217, v21
	v_fmac_f32_e32 v205, 0x3f737871, v212
	v_fmac_f32_e32 v216, 0xbf737871, v212
	v_add_f32_e32 v21, v209, v21
	v_fmac_f32_e32 v205, 0xbf167918, v20
	v_fmac_f32_e32 v216, 0x3f167918, v20
	;; [unrolled: 1-line block ×4, first 2 shown]
	v_add_f32_e32 v240, v2, v1
	v_mul_f32_e32 v209, 0xbf737871, v205
	v_mul_f32_e32 v205, 0xbe9e377a, v205
	v_sub_f32_e32 v230, v2, v1
	v_add_f32_e32 v1, v220, v16
	v_mul_f32_e32 v20, 0xbf167918, v208
	v_mul_f32_e32 v21, 0xbf737871, v216
	v_fmac_f32_e32 v209, 0xbe9e377a, v204
	v_mul_f32_e32 v213, 0x3f167918, v18
	v_fmac_f32_e32 v205, 0x3f737871, v204
	v_mul_f32_e32 v204, 0xbf4f1bbd, v19
	v_fma_f32 v1, -0.5, v1, v200
	v_fmac_f32_e32 v20, 0x3f4f1bbd, v18
	v_fmac_f32_e32 v21, 0x3e9e377a, v229
	v_add_f32_e32 v234, v15, v209
	v_add_f32_e32 v241, v203, v14
	v_fmac_f32_e32 v213, 0x3f4f1bbd, v208
	v_mul_f32_e32 v208, 0x3e9e377a, v216
	v_fmac_f32_e32 v204, 0x3f167918, v4
	v_sub_f32_e32 v2, v15, v209
	v_sub_f32_e32 v231, v203, v14
	v_sub_f32_e32 v14, v13, v7
	v_mov_b32_e32 v15, v1
	v_add_f32_e32 v242, v5, v20
	v_add_f32_e32 v232, v202, v21
	v_fmac_f32_e32 v208, 0x3f737871, v229
	v_add_f32_e32 v229, v226, v204
	v_sub_f32_e32 v18, v5, v20
	v_sub_f32_e32 v20, v202, v21
	;; [unrolled: 1-line block ×3, first 2 shown]
	v_fmac_f32_e32 v15, 0xbf737871, v14
	v_sub_f32_e32 v202, v221, v17
	v_sub_f32_e32 v203, v12, v220
	;; [unrolled: 1-line block ×3, first 2 shown]
	v_fmac_f32_e32 v1, 0x3f737871, v14
	v_fmac_f32_e32 v15, 0xbf167918, v202
	v_add_f32_e32 v203, v203, v204
	v_fmac_f32_e32 v1, 0x3f167918, v202
	v_fmac_f32_e32 v15, 0x3e9e377a, v203
	v_fmac_f32_e32 v1, 0x3e9e377a, v203
	v_add_f32_e32 v203, v12, v6
	v_add_f32_e32 v233, v0, v208
	v_sub_f32_e32 v21, v0, v208
	v_add_f32_e32 v0, v200, v12
	v_fma_f32 v200, -0.5, v203, v200
	v_mul_f32_e32 v212, 0xbf167918, v19
	v_mov_b32_e32 v203, v200
	v_fmac_f32_e32 v212, 0xbf4f1bbd, v4
	v_add_f32_e32 v0, v0, v220
	v_fmac_f32_e32 v203, 0x3f737871, v202
	v_fmac_f32_e32 v200, 0xbf737871, v202
	v_add_f32_e32 v202, v221, v17
	v_add_f32_e32 v228, v3, v212
	;; [unrolled: 1-line block ×3, first 2 shown]
	v_sub_f32_e32 v4, v3, v212
	v_sub_f32_e32 v3, v227, v205
	v_add_f32_e32 v0, v0, v16
	v_sub_f32_e32 v204, v220, v12
	v_sub_f32_e32 v205, v16, v6
	v_fma_f32 v226, -0.5, v202, v201
	v_add_f32_e32 v0, v0, v6
	v_fmac_f32_e32 v203, 0xbf167918, v14
	v_add_f32_e32 v204, v204, v205
	v_fmac_f32_e32 v200, 0x3f167918, v14
	v_sub_f32_e32 v6, v12, v6
	v_mov_b32_e32 v12, v226
	v_fmac_f32_e32 v203, 0x3e9e377a, v204
	v_fmac_f32_e32 v200, 0x3e9e377a, v204
	;; [unrolled: 1-line block ×3, first 2 shown]
	v_sub_f32_e32 v16, v220, v16
	v_sub_f32_e32 v202, v13, v221
	;; [unrolled: 1-line block ×3, first 2 shown]
	v_fmac_f32_e32 v226, 0xbf737871, v6
	v_fmac_f32_e32 v12, 0x3f167918, v16
	v_add_f32_e32 v202, v202, v204
	v_fmac_f32_e32 v226, 0xbf167918, v16
	v_add_f32_e32 v14, v201, v13
	v_fmac_f32_e32 v12, 0x3e9e377a, v202
	v_fmac_f32_e32 v226, 0x3e9e377a, v202
	v_add_f32_e32 v202, v13, v7
	v_add_f32_e32 v14, v14, v221
	v_fmac_f32_e32 v201, -0.5, v202
	v_add_f32_e32 v14, v14, v17
	v_mov_b32_e32 v220, v201
	v_add_f32_e32 v14, v14, v7
	v_fmac_f32_e32 v220, 0xbf737871, v16
	v_sub_f32_e32 v13, v221, v13
	v_sub_f32_e32 v7, v17, v7
	v_fmac_f32_e32 v201, 0x3f737871, v16
	v_fmac_f32_e32 v220, 0x3f167918, v6
	v_add_f32_e32 v7, v13, v7
	v_fmac_f32_e32 v201, 0xbf167918, v6
	v_fmac_f32_e32 v220, 0x3e9e377a, v7
	;; [unrolled: 1-line block ×3, first 2 shown]
	v_add_f32_e32 v7, v214, v218
	v_fma_f32 v7, -0.5, v7, v206
	v_add_f32_e32 v6, v206, v210
	v_sub_f32_e32 v13, v211, v23
	v_mov_b32_e32 v16, v7
	v_add_f32_e32 v6, v6, v214
	v_fmac_f32_e32 v16, 0xbf737871, v13
	v_sub_f32_e32 v17, v215, v219
	v_sub_f32_e32 v202, v210, v214
	;; [unrolled: 1-line block ×3, first 2 shown]
	v_fmac_f32_e32 v7, 0x3f737871, v13
	v_add_f32_e32 v6, v6, v218
	v_fmac_f32_e32 v16, 0xbf167918, v17
	v_add_f32_e32 v202, v202, v204
	;; [unrolled: 2-line block ×3, first 2 shown]
	v_fmac_f32_e32 v16, 0x3e9e377a, v202
	v_fmac_f32_e32 v7, 0x3e9e377a, v202
	v_add_f32_e32 v202, v210, v22
	v_fma_f32 v202, -0.5, v202, v206
	v_sub_f32_e32 v205, v214, v210
	v_sub_f32_e32 v206, v218, v22
	;; [unrolled: 1-line block ×3, first 2 shown]
	v_add_f32_e32 v216, v0, v6
	v_sub_f32_e32 v210, v0, v6
	s_barrier
	buffer_load_dword v0, off, s[24:27], 0 offset:432 ; 4-byte Folded Reload
	s_waitcnt vmcnt(0)
	ds_write_b128 v0, v[8:11]
	ds_write_b128 v0, v[222:225] offset:16
	ds_write_b128 v0, v[236:239] offset:32
	;; [unrolled: 1-line block ×4, first 2 shown]
	buffer_load_dword v0, off, s[24:27], 0 offset:428 ; 4-byte Folded Reload
	v_add_f32_e32 v243, v244, v213
	v_sub_f32_e32 v19, v244, v213
	s_waitcnt vmcnt(0)
	ds_write_b128 v0, v[240:243]
	ds_write_b128 v0, v[232:235] offset:16
	ds_write_b128 v0, v[228:231] offset:32
	;; [unrolled: 1-line block ×4, first 2 shown]
	buffer_load_dword v0, off, s[24:27], 0 offset:380 ; 4-byte Folded Reload
	v_mov_b32_e32 v204, v202
	v_fmac_f32_e32 v204, 0x3f737871, v17
	v_fmac_f32_e32 v202, 0xbf737871, v17
	v_add_f32_e32 v17, v215, v219
	v_fmac_f32_e32 v204, 0xbf167918, v13
	v_add_f32_e32 v205, v205, v206
	v_fmac_f32_e32 v202, 0x3f167918, v13
	v_fma_f32 v17, -0.5, v17, v207
	v_fmac_f32_e32 v204, 0x3e9e377a, v205
	v_fmac_f32_e32 v202, 0x3e9e377a, v205
	v_mov_b32_e32 v205, v17
	v_fmac_f32_e32 v205, 0x3f737871, v22
	v_sub_f32_e32 v206, v214, v218
	v_sub_f32_e32 v208, v211, v215
	;; [unrolled: 1-line block ×3, first 2 shown]
	v_fmac_f32_e32 v17, 0xbf737871, v22
	v_fmac_f32_e32 v205, 0x3f167918, v206
	v_add_f32_e32 v208, v208, v209
	v_fmac_f32_e32 v17, 0xbf167918, v206
	v_add_f32_e32 v13, v207, v211
	v_fmac_f32_e32 v205, 0x3e9e377a, v208
	v_fmac_f32_e32 v17, 0x3e9e377a, v208
	v_add_f32_e32 v208, v211, v23
	v_add_f32_e32 v13, v13, v215
	v_fmac_f32_e32 v207, -0.5, v208
	v_add_f32_e32 v13, v13, v219
	v_mov_b32_e32 v209, v207
	v_add_f32_e32 v13, v13, v23
	v_fmac_f32_e32 v209, 0xbf737871, v206
	v_sub_f32_e32 v208, v215, v211
	v_sub_f32_e32 v23, v219, v23
	v_fmac_f32_e32 v207, 0x3f737871, v206
	v_fmac_f32_e32 v209, 0x3f167918, v22
	v_add_f32_e32 v23, v208, v23
	v_fmac_f32_e32 v207, 0xbf167918, v22
	v_mul_f32_e32 v22, 0xbf167918, v205
	v_fmac_f32_e32 v209, 0x3e9e377a, v23
	v_fmac_f32_e32 v207, 0x3e9e377a, v23
	;; [unrolled: 1-line block ×3, first 2 shown]
	v_mul_f32_e32 v16, 0x3f167918, v16
	v_mul_f32_e32 v23, 0xbf737871, v209
	;; [unrolled: 1-line block ×4, first 2 shown]
	v_fmac_f32_e32 v16, 0x3f4f1bbd, v205
	v_mul_f32_e32 v227, 0x3e9e377a, v209
	v_mul_f32_e32 v244, 0xbe9e377a, v207
	;; [unrolled: 1-line block ×3, first 2 shown]
	v_add_f32_e32 v218, v15, v22
	v_fmac_f32_e32 v23, 0x3e9e377a, v204
	v_fmac_f32_e32 v211, 0xbe9e377a, v202
	v_fmac_f32_e32 v221, 0xbf4f1bbd, v7
	v_add_f32_e32 v217, v14, v13
	v_add_f32_e32 v219, v12, v16
	v_fmac_f32_e32 v227, 0x3f737871, v204
	v_fmac_f32_e32 v244, 0x3f737871, v202
	;; [unrolled: 1-line block ×3, first 2 shown]
	v_add_f32_e32 v212, v203, v23
	v_add_f32_e32 v214, v200, v211
	;; [unrolled: 1-line block ×6, first 2 shown]
	v_sub_f32_e32 v204, v15, v22
	v_sub_f32_e32 v206, v203, v23
	;; [unrolled: 1-line block ×9, first 2 shown]
	s_waitcnt vmcnt(0)
	ds_write_b128 v0, v[216:219]
	ds_write_b128 v0, v[212:215] offset:16
	ds_write_b128 v0, v[208:211] offset:32
	;; [unrolled: 1-line block ×4, first 2 shown]
	v_add_u32_e32 v0, 0x3000, v247
	s_waitcnt lgkmcnt(0)
	s_barrier
	ds_read2_b64 v[4:7], v247 offset1:81
	ds_read2_b64 v[8:11], v246 offset0:42 offset1:123
	ds_read2_b64 v[12:15], v0 offset0:84 offset1:165
	;; [unrolled: 1-line block ×3, first 2 shown]
	v_add_u32_e32 v0, 0x3400, v247
	ds_read2_b64 v[212:215], v0 offset0:118 offset1:199
	v_add_u32_e32 v0, 0x3800, v247
	v_add_u32_e32 v255, 0x1c00, v247
	;; [unrolled: 1-line block ×4, first 2 shown]
	ds_read2_b64 v[220:223], v0 offset0:152 offset1:233
	v_add_u32_e32 v249, 0xc00, v247
	v_add_u32_e32 v0, 0x2800, v247
	;; [unrolled: 1-line block ×6, first 2 shown]
	ds_read2_b64 v[16:19], v255 offset0:76 offset1:157
	ds_read2_b64 v[204:207], v251 offset0:68 offset1:149
	;; [unrolled: 1-line block ×9, first 2 shown]
	buffer_load_dword v240, off, s[24:27], 0 offset:248 ; 4-byte Folded Reload
	buffer_load_dword v241, off, s[24:27], 0 offset:252 ; 4-byte Folded Reload
	;; [unrolled: 1-line block ×4, first 2 shown]
	s_waitcnt lgkmcnt(9)
	v_mul_f32_e32 v248, v31, v223
	v_fmac_f32_e32 v248, v30, v222
	s_waitcnt vmcnt(2)
	v_mul_f32_e32 v20, v241, v9
	v_fmac_f32_e32 v20, v240, v8
	v_mul_f32_e32 v8, v241, v8
	v_fma_f32 v8, v240, v9, -v8
	s_waitcnt vmcnt(0)
	v_mul_f32_e32 v9, v243, v13
	v_fmac_f32_e32 v9, v242, v12
	v_mul_f32_e32 v12, v243, v12
	v_fma_f32 v12, v242, v13, -v12
	buffer_load_dword v240, off, s[24:27], 0 offset:264 ; 4-byte Folded Reload
	buffer_load_dword v241, off, s[24:27], 0 offset:268 ; 4-byte Folded Reload
	;; [unrolled: 1-line block ×4, first 2 shown]
	s_waitcnt vmcnt(2)
	v_mul_f32_e32 v13, v241, v11
	v_fmac_f32_e32 v13, v240, v10
	v_mul_f32_e32 v10, v241, v10
	v_fma_f32 v10, v240, v11, -v10
	s_waitcnt vmcnt(0)
	v_mul_f32_e32 v11, v243, v15
	v_fmac_f32_e32 v11, v242, v14
	v_mul_f32_e32 v14, v243, v14
	v_fma_f32 v14, v242, v15, -v14
	buffer_load_dword v240, off, s[24:27], 0 offset:280 ; 4-byte Folded Reload
	buffer_load_dword v241, off, s[24:27], 0 offset:284 ; 4-byte Folded Reload
	;; [unrolled: 1-line block ×4, first 2 shown]
	s_waitcnt vmcnt(2) lgkmcnt(8)
	v_mul_f32_e32 v15, v241, v17
	v_fmac_f32_e32 v15, v240, v16
	v_mul_f32_e32 v16, v241, v16
	v_fma_f32 v16, v240, v17, -v16
	s_waitcnt vmcnt(0)
	v_mul_f32_e32 v17, v243, v213
	v_mul_f32_e32 v21, v243, v212
	v_fmac_f32_e32 v17, v242, v212
	v_fma_f32 v21, v242, v213, -v21
	buffer_load_dword v240, off, s[24:27], 0 offset:296 ; 4-byte Folded Reload
	buffer_load_dword v241, off, s[24:27], 0 offset:300 ; 4-byte Folded Reload
	;; [unrolled: 1-line block ×4, first 2 shown]
	s_waitcnt vmcnt(2)
	v_mul_f32_e32 v22, v241, v19
	v_fmac_f32_e32 v22, v240, v18
	v_mul_f32_e32 v18, v241, v18
	v_fma_f32 v18, v240, v19, -v18
	s_waitcnt vmcnt(0)
	v_mul_f32_e32 v19, v243, v215
	v_mul_f32_e32 v23, v243, v214
	v_fmac_f32_e32 v19, v242, v214
	v_fma_f32 v23, v242, v215, -v23
	buffer_load_dword v241, off, s[24:27], 0 offset:332 ; 4-byte Folded Reload
	buffer_load_dword v242, off, s[24:27], 0 offset:336 ; 4-byte Folded Reload
	;; [unrolled: 1-line block ×4, first 2 shown]
	s_waitcnt vmcnt(0) lgkmcnt(0)
	s_barrier
	v_mul_f32_e32 v240, v242, v217
	v_mul_f32_e32 v212, v242, v216
	v_fmac_f32_e32 v240, v241, v216
	v_fma_f32 v241, v241, v217, -v212
	v_mul_f32_e32 v242, v244, v221
	v_mul_f32_e32 v212, v244, v220
	v_mul_f32_e32 v244, v29, v219
	v_mul_f32_e32 v29, v29, v218
	v_fmac_f32_e32 v244, v28, v218
	v_fma_f32 v245, v28, v219, -v29
	v_mul_f32_e32 v28, v31, v222
	v_fma_f32 v31, v30, v223, -v28
	v_mul_f32_e32 v222, v37, v225
	v_mul_f32_e32 v28, v37, v224
	v_fmac_f32_e32 v222, v36, v224
	v_fma_f32 v223, v36, v225, -v28
	v_mul_f32_e32 v224, v39, v229
	v_mul_f32_e32 v28, v39, v228
	v_fmac_f32_e32 v224, v38, v228
	;; [unrolled: 4-line block ×7, first 2 shown]
	v_fma_f32 v234, v60, v235, -v28
	v_mul_f32_e32 v28, v63, v238
	v_fma_f32 v237, v62, v239, -v28
	v_add_f32_e32 v28, v4, v20
	v_add_f32_e32 v218, v28, v9
	;; [unrolled: 1-line block ×3, first 2 shown]
	v_fmac_f32_e32 v242, v243, v220
	v_fma_f32 v243, v243, v221, -v212
	v_fma_f32 v212, -0.5, v28, v4
	v_sub_f32_e32 v4, v8, v12
	v_mov_b32_e32 v220, v212
	v_fmac_f32_e32 v220, 0xbf5db3d7, v4
	v_fmac_f32_e32 v212, 0x3f5db3d7, v4
	v_add_f32_e32 v4, v5, v8
	v_add_f32_e32 v219, v4, v12
	v_add_f32_e32 v4, v8, v12
	v_fma_f32 v213, -0.5, v4, v5
	v_sub_f32_e32 v4, v20, v9
	v_mov_b32_e32 v221, v213
	v_fmac_f32_e32 v221, 0x3f5db3d7, v4
	v_fmac_f32_e32 v213, 0xbf5db3d7, v4
	v_add_f32_e32 v4, v6, v13
	v_add_f32_e32 v214, v4, v11
	v_add_f32_e32 v4, v13, v11
	;; [unrolled: 8-line block ×3, first 2 shown]
	v_fmac_f32_e32 v7, -0.5, v4
	v_sub_f32_e32 v4, v13, v11
	v_mov_b32_e32 v217, v7
	v_fmac_f32_e32 v217, 0x3f5db3d7, v4
	v_fmac_f32_e32 v7, 0xbf5db3d7, v4
	v_add_f32_e32 v4, v208, v15
	v_add_f32_e32 v60, v4, v17
	;; [unrolled: 1-line block ×3, first 2 shown]
	v_mul_f32_e32 v235, v63, v239
	v_fma_f32 v54, -0.5, v4, v208
	v_fmac_f32_e32 v235, v62, v238
	v_sub_f32_e32 v4, v16, v21
	v_mov_b32_e32 v62, v54
	v_fmac_f32_e32 v62, 0xbf5db3d7, v4
	v_fmac_f32_e32 v54, 0x3f5db3d7, v4
	v_add_f32_e32 v4, v209, v16
	v_add_f32_e32 v61, v4, v21
	v_add_f32_e32 v4, v16, v21
	v_fma_f32 v55, -0.5, v4, v209
	v_sub_f32_e32 v4, v15, v17
	v_mov_b32_e32 v63, v55
	v_fmac_f32_e32 v63, 0x3f5db3d7, v4
	v_fmac_f32_e32 v55, 0xbf5db3d7, v4
	v_add_f32_e32 v4, v210, v22
	v_add_f32_e32 v46, v4, v19
	v_add_f32_e32 v4, v22, v19
	v_fma_f32 v210, -0.5, v4, v210
	v_sub_f32_e32 v4, v18, v23
	v_mov_b32_e32 v52, v210
	v_fmac_f32_e32 v52, 0xbf5db3d7, v4
	v_fmac_f32_e32 v210, 0x3f5db3d7, v4
	v_add_f32_e32 v4, v211, v18
	v_add_f32_e32 v47, v4, v23
	v_add_f32_e32 v4, v18, v23
	v_fmac_f32_e32 v211, -0.5, v4
	v_sub_f32_e32 v4, v22, v19
	v_mov_b32_e32 v53, v211
	v_fmac_f32_e32 v53, 0x3f5db3d7, v4
	v_fmac_f32_e32 v211, 0xbf5db3d7, v4
	v_add_f32_e32 v4, v204, v240
	v_add_f32_e32 v38, v4, v242
	v_add_f32_e32 v4, v240, v242
	v_fma_f32 v36, -0.5, v4, v204
	v_sub_f32_e32 v4, v241, v243
	v_mov_b32_e32 v44, v36
	v_fmac_f32_e32 v44, 0xbf5db3d7, v4
	v_fmac_f32_e32 v36, 0x3f5db3d7, v4
	v_add_f32_e32 v4, v205, v241
	v_add_f32_e32 v39, v4, v243
	v_add_f32_e32 v4, v241, v243
	v_fma_f32 v37, -0.5, v4, v205
	v_sub_f32_e32 v4, v240, v242
	v_mov_b32_e32 v45, v37
	v_fmac_f32_e32 v45, 0x3f5db3d7, v4
	v_fmac_f32_e32 v37, 0xbf5db3d7, v4
	v_add_f32_e32 v4, v206, v244
	v_add_f32_e32 v28, v4, v248
	v_add_f32_e32 v4, v244, v248
	v_fma_f32 v206, -0.5, v4, v206
	v_sub_f32_e32 v4, v245, v31
	v_mov_b32_e32 v30, v206
	v_fmac_f32_e32 v30, 0xbf5db3d7, v4
	v_fmac_f32_e32 v206, 0x3f5db3d7, v4
	v_add_f32_e32 v4, v207, v245
	v_add_f32_e32 v29, v4, v31
	v_add_f32_e32 v4, v245, v31
	v_fmac_f32_e32 v207, -0.5, v4
	v_sub_f32_e32 v4, v244, v248
	v_mov_b32_e32 v31, v207
	v_fmac_f32_e32 v31, 0x3f5db3d7, v4
	v_fmac_f32_e32 v207, 0xbf5db3d7, v4
	v_add_f32_e32 v4, v200, v222
	v_add_f32_e32 v20, v4, v224
	v_add_f32_e32 v4, v222, v224
	v_fma_f32 v18, -0.5, v4, v200
	;; [unrolled: 32-line block ×3, first 2 shown]
	v_sub_f32_e32 v0, v231, v233
	v_mov_b32_e32 v12, v8
	v_fmac_f32_e32 v12, 0xbf5db3d7, v0
	v_fmac_f32_e32 v8, 0x3f5db3d7, v0
	v_add_f32_e32 v0, v1, v231
	v_add_f32_e32 v11, v0, v233
	;; [unrolled: 1-line block ×3, first 2 shown]
	v_fma_f32 v9, -0.5, v0, v1
	v_sub_f32_e32 v0, v230, v232
	v_mov_b32_e32 v13, v9
	v_add_f32_e32 v1, v236, v235
	v_fmac_f32_e32 v13, 0x3f5db3d7, v0
	v_fmac_f32_e32 v9, 0xbf5db3d7, v0
	v_add_f32_e32 v0, v2, v236
	v_fma_f32 v2, -0.5, v1, v2
	v_sub_f32_e32 v1, v234, v237
	v_mov_b32_e32 v4, v2
	v_add_f32_e32 v5, v234, v237
	v_fmac_f32_e32 v4, 0xbf5db3d7, v1
	v_fmac_f32_e32 v2, 0x3f5db3d7, v1
	v_add_f32_e32 v1, v3, v234
	v_fmac_f32_e32 v3, -0.5, v5
	v_sub_f32_e32 v200, v236, v235
	v_mov_b32_e32 v5, v3
	v_fmac_f32_e32 v5, 0x3f5db3d7, v200
	v_fmac_f32_e32 v3, 0xbf5db3d7, v200
	buffer_load_dword v200, off, s[24:27], 0 offset:384 ; 4-byte Folded Reload
	s_waitcnt vmcnt(0)
	ds_write2_b64 v200, v[218:219], v[220:221] offset1:10
	ds_write_b64 v200, v[212:213] offset:160
	buffer_load_dword v200, off, s[24:27], 0 offset:376 ; 4-byte Folded Reload
	s_waitcnt vmcnt(0)
	ds_write2_b64 v200, v[214:215], v[216:217] offset1:10
	ds_write_b64 v200, v[6:7] offset:160
	;; [unrolled: 4-line block ×9, first 2 shown]
	buffer_load_dword v6, off, s[24:27], 0 offset:312 ; 4-byte Folded Reload
	v_add_f32_e32 v0, v0, v235
	v_add_f32_e32 v1, v1, v237
	v_add_u32_e32 v233, 0x3000, v247
	v_add_u32_e32 v231, 0x3400, v247
	;; [unrolled: 1-line block ×5, first 2 shown]
	s_waitcnt vmcnt(0)
	ds_write2_b64 v6, v[0:1], v[4:5] offset1:10
	ds_write_b64 v6, v[2:3] offset:160
	s_waitcnt lgkmcnt(0)
	s_barrier
	ds_read2_b64 v[16:19], v247 offset1:81
	ds_read2_b64 v[20:23], v246 offset0:42 offset1:123
	ds_read2_b64 v[28:31], v233 offset0:84 offset1:165
	;; [unrolled: 1-line block ×14, first 2 shown]
	buffer_load_dword v217, off, s[24:27], 0 offset:316 ; 4-byte Folded Reload
	buffer_load_dword v218, off, s[24:27], 0 offset:320 ; 4-byte Folded Reload
	;; [unrolled: 1-line block ×4, first 2 shown]
	s_waitcnt vmcnt(0) lgkmcnt(0)
	s_barrier
	v_mul_f32_e32 v216, v218, v21
	v_fmac_f32_e32 v216, v217, v20
	v_mul_f32_e32 v20, v218, v20
	v_fma_f32 v20, v217, v21, -v20
	v_mul_f32_e32 v21, v220, v29
	v_fmac_f32_e32 v21, v219, v28
	v_mul_f32_e32 v28, v220, v28
	v_fma_f32 v28, v219, v29, -v28
	v_mul_f32_e32 v29, v25, v23
	v_fmac_f32_e32 v29, v24, v22
	v_mul_f32_e32 v22, v25, v22
	v_fma_f32 v22, v24, v23, -v22
	v_mul_f32_e32 v23, v27, v31
	v_mul_f32_e32 v24, v27, v30
	;; [unrolled: 1-line block ×3, first 2 shown]
	v_fmac_f32_e32 v23, v26, v30
	v_fma_f32 v24, v26, v31, -v24
	v_fmac_f32_e32 v25, v32, v36
	v_mul_f32_e32 v26, v33, v36
	v_mul_f32_e32 v217, v51, v61
	;; [unrolled: 1-line block ×3, first 2 shown]
	v_fmac_f32_e32 v217, v50, v60
	v_fma_f32 v60, v50, v61, -v36
	v_mul_f32_e32 v36, v57, v54
	v_fma_f32 v218, v56, v55, -v36
	v_mul_f32_e32 v219, v59, v63
	v_mul_f32_e32 v36, v59, v62
	v_fmac_f32_e32 v219, v58, v62
	v_fma_f32 v62, v58, v63, -v36
	v_mul_f32_e32 v63, v65, v201
	v_mul_f32_e32 v36, v65, v200
	v_fmac_f32_e32 v63, v64, v200
	;; [unrolled: 4-line block ×8, first 2 shown]
	v_fma_f32 v76, v76, v211, -v36
	v_mul_f32_e32 v77, v79, v215
	v_mul_f32_e32 v36, v79, v214
	v_mul_f32_e32 v61, v57, v55
	v_fmac_f32_e32 v77, v78, v214
	v_fma_f32 v78, v78, v215, -v36
	v_add_f32_e32 v36, v16, v216
	v_fmac_f32_e32 v61, v56, v54
	v_add_f32_e32 v56, v36, v21
	v_add_f32_e32 v36, v216, v21
	v_fma_f32 v50, -0.5, v36, v16
	v_sub_f32_e32 v16, v20, v28
	v_mov_b32_e32 v58, v50
	v_fmac_f32_e32 v58, 0xbf5db3d7, v16
	v_fmac_f32_e32 v50, 0x3f5db3d7, v16
	v_add_f32_e32 v16, v17, v20
	v_add_f32_e32 v57, v16, v28
	;; [unrolled: 1-line block ×3, first 2 shown]
	v_fma_f32 v51, -0.5, v16, v17
	v_fma_f32 v26, v32, v37, -v26
	v_mul_f32_e32 v32, v41, v38
	v_sub_f32_e32 v16, v216, v21
	v_mov_b32_e32 v59, v51
	v_mul_f32_e32 v31, v41, v39
	v_fma_f32 v32, v40, v39, -v32
	v_mul_f32_e32 v39, v49, v53
	v_fmac_f32_e32 v59, 0x3f5db3d7, v16
	v_fmac_f32_e32 v51, 0xbf5db3d7, v16
	v_add_f32_e32 v16, v18, v29
	v_mul_f32_e32 v27, v35, v45
	v_mul_f32_e32 v30, v35, v44
	v_fmac_f32_e32 v39, v48, v52
	v_mul_f32_e32 v35, v49, v52
	v_add_f32_e32 v52, v16, v23
	v_add_f32_e32 v16, v29, v23
	v_fma_f32 v18, -0.5, v16, v18
	v_sub_f32_e32 v16, v22, v24
	v_mov_b32_e32 v54, v18
	v_fmac_f32_e32 v54, 0xbf5db3d7, v16
	v_fmac_f32_e32 v18, 0x3f5db3d7, v16
	v_add_f32_e32 v16, v19, v22
	v_fma_f32 v35, v48, v53, -v35
	v_add_f32_e32 v53, v16, v24
	v_add_f32_e32 v16, v22, v24
	v_fmac_f32_e32 v19, -0.5, v16
	v_sub_f32_e32 v16, v29, v23
	v_mov_b32_e32 v55, v19
	v_fmac_f32_e32 v27, v34, v44
	v_mul_f32_e32 v33, v43, v47
	v_fmac_f32_e32 v55, 0x3f5db3d7, v16
	v_fmac_f32_e32 v19, 0xbf5db3d7, v16
	v_add_f32_e32 v16, v12, v25
	v_fma_f32 v30, v34, v45, -v30
	v_fmac_f32_e32 v33, v42, v46
	v_mul_f32_e32 v34, v43, v46
	v_add_f32_e32 v46, v16, v27
	v_add_f32_e32 v16, v25, v27
	v_fma_f32 v44, -0.5, v16, v12
	v_sub_f32_e32 v12, v26, v30
	v_mov_b32_e32 v48, v44
	v_fmac_f32_e32 v48, 0xbf5db3d7, v12
	v_fmac_f32_e32 v44, 0x3f5db3d7, v12
	v_add_f32_e32 v12, v13, v26
	v_fma_f32 v34, v42, v47, -v34
	v_add_f32_e32 v47, v12, v30
	v_add_f32_e32 v12, v26, v30
	v_fma_f32 v45, -0.5, v12, v13
	v_fmac_f32_e32 v31, v40, v38
	v_sub_f32_e32 v12, v25, v27
	v_mov_b32_e32 v49, v45
	v_fmac_f32_e32 v49, 0x3f5db3d7, v12
	v_fmac_f32_e32 v45, 0xbf5db3d7, v12
	v_add_f32_e32 v12, v14, v31
	v_add_f32_e32 v40, v12, v33
	v_add_f32_e32 v12, v31, v33
	v_fma_f32 v14, -0.5, v12, v14
	v_sub_f32_e32 v12, v32, v34
	v_mov_b32_e32 v42, v14
	v_fmac_f32_e32 v42, 0xbf5db3d7, v12
	v_fmac_f32_e32 v14, 0x3f5db3d7, v12
	v_add_f32_e32 v12, v15, v32
	v_add_f32_e32 v41, v12, v34
	v_add_f32_e32 v12, v32, v34
	v_fmac_f32_e32 v15, -0.5, v12
	v_sub_f32_e32 v12, v31, v33
	v_mov_b32_e32 v43, v15
	v_fmac_f32_e32 v43, 0x3f5db3d7, v12
	v_fmac_f32_e32 v15, 0xbf5db3d7, v12
	v_add_f32_e32 v12, v8, v39
	v_add_f32_e32 v36, v12, v217
	v_add_f32_e32 v12, v39, v217
	v_fma_f32 v34, -0.5, v12, v8
	v_sub_f32_e32 v8, v35, v60
	v_mov_b32_e32 v38, v34
	v_fmac_f32_e32 v38, 0xbf5db3d7, v8
	v_fmac_f32_e32 v34, 0x3f5db3d7, v8
	v_add_f32_e32 v8, v9, v35
	v_add_f32_e32 v37, v8, v60
	v_add_f32_e32 v8, v35, v60
	v_fma_f32 v35, -0.5, v8, v9
	v_sub_f32_e32 v8, v39, v217
	v_mov_b32_e32 v39, v35
	v_fmac_f32_e32 v39, 0x3f5db3d7, v8
	v_fmac_f32_e32 v35, 0xbf5db3d7, v8
	v_add_f32_e32 v8, v10, v61
	v_add_f32_e32 v30, v8, v219
	v_add_f32_e32 v8, v61, v219
	v_fma_f32 v10, -0.5, v8, v10
	v_sub_f32_e32 v8, v218, v62
	v_mov_b32_e32 v32, v10
	v_fmac_f32_e32 v32, 0xbf5db3d7, v8
	v_fmac_f32_e32 v10, 0x3f5db3d7, v8
	v_add_f32_e32 v8, v11, v218
	v_add_f32_e32 v31, v8, v62
	v_add_f32_e32 v8, v218, v62
	v_fmac_f32_e32 v11, -0.5, v8
	v_sub_f32_e32 v8, v61, v219
	v_mov_b32_e32 v33, v11
	v_fmac_f32_e32 v33, 0x3f5db3d7, v8
	v_fmac_f32_e32 v11, 0xbf5db3d7, v8
	v_add_f32_e32 v8, v4, v63
	v_add_f32_e32 v26, v8, v65
	v_add_f32_e32 v8, v63, v65
	v_fma_f32 v24, -0.5, v8, v4
	v_sub_f32_e32 v4, v64, v66
	v_mov_b32_e32 v28, v24
	v_fmac_f32_e32 v28, 0xbf5db3d7, v4
	v_fmac_f32_e32 v24, 0x3f5db3d7, v4
	v_add_f32_e32 v4, v5, v64
	v_add_f32_e32 v27, v4, v66
	v_add_f32_e32 v4, v64, v66
	v_fma_f32 v25, -0.5, v4, v5
	;; [unrolled: 32-line block ×3, first 2 shown]
	v_sub_f32_e32 v0, v71, v73
	v_mov_b32_e32 v17, v9
	v_add_f32_e32 v1, v75, v77
	v_fmac_f32_e32 v17, 0x3f5db3d7, v0
	v_fmac_f32_e32 v9, 0xbf5db3d7, v0
	v_add_f32_e32 v0, v2, v75
	v_fma_f32 v2, -0.5, v1, v2
	v_sub_f32_e32 v1, v76, v78
	v_mov_b32_e32 v4, v2
	v_add_f32_e32 v5, v76, v78
	v_fmac_f32_e32 v4, 0xbf5db3d7, v1
	v_fmac_f32_e32 v2, 0x3f5db3d7, v1
	v_add_f32_e32 v1, v3, v76
	v_fmac_f32_e32 v3, -0.5, v5
	v_sub_f32_e32 v60, v75, v77
	v_mov_b32_e32 v5, v3
	v_fmac_f32_e32 v5, 0x3f5db3d7, v60
	v_fmac_f32_e32 v3, 0xbf5db3d7, v60
	buffer_load_dword v60, off, s[24:27], 0 offset:388 ; 4-byte Folded Reload
	s_waitcnt vmcnt(0)
	ds_write2_b64 v60, v[56:57], v[58:59] offset1:30
	ds_write_b64 v60, v[50:51] offset:480
	buffer_load_dword v50, off, s[24:27], 0 offset:392 ; 4-byte Folded Reload
	s_waitcnt vmcnt(0)
	ds_write2_b64 v50, v[52:53], v[54:55] offset1:30
	ds_write_b64 v50, v[18:19] offset:480
	;; [unrolled: 4-line block ×9, first 2 shown]
	buffer_load_dword v6, off, s[24:27], 0 offset:408 ; 4-byte Folded Reload
	v_add_f32_e32 v0, v0, v77
	v_add_f32_e32 v1, v1, v78
	s_waitcnt vmcnt(0)
	ds_write2_b64 v6, v[0:1], v[4:5] offset1:30
	ds_write_b64 v6, v[2:3] offset:480
	s_waitcnt lgkmcnt(0)
	s_barrier
	ds_read2_b64 v[16:19], v247 offset1:81
	ds_read2_b64 v[20:23], v246 offset0:42 offset1:123
	ds_read2_b64 v[24:27], v233 offset0:84 offset1:165
	;; [unrolled: 1-line block ×14, first 2 shown]
	s_waitcnt lgkmcnt(13)
	v_mul_f32_e32 v60, v81, v21
	v_fmac_f32_e32 v60, v80, v20
	v_mul_f32_e32 v20, v81, v20
	v_fma_f32 v20, v80, v21, -v20
	s_waitcnt lgkmcnt(12)
	v_mul_f32_e32 v21, v83, v25
	v_fmac_f32_e32 v21, v82, v24
	v_mul_f32_e32 v24, v83, v24
	v_fma_f32 v24, v82, v25, -v24
	v_mul_f32_e32 v25, v85, v23
	v_fmac_f32_e32 v25, v84, v22
	v_mul_f32_e32 v22, v85, v22
	v_fma_f32 v22, v84, v23, -v22
	;; [unrolled: 4-line block ×3, first 2 shown]
	s_waitcnt lgkmcnt(10)
	v_mul_f32_e32 v27, v89, v29
	v_fmac_f32_e32 v27, v88, v28
	v_mul_f32_e32 v28, v89, v28
	v_fma_f32 v28, v88, v29, -v28
	s_waitcnt lgkmcnt(9)
	v_mul_f32_e32 v29, v91, v33
	v_fmac_f32_e32 v29, v90, v32
	v_mul_f32_e32 v32, v91, v32
	v_fma_f32 v32, v90, v33, -v32
	v_mul_f32_e32 v33, v93, v31
	v_fmac_f32_e32 v33, v92, v30
	v_mul_f32_e32 v30, v93, v30
	v_fma_f32 v30, v92, v31, -v30
	v_mul_f32_e32 v31, v95, v35
	v_fmac_f32_e32 v31, v94, v34
	v_mul_f32_e32 v34, v95, v34
	s_waitcnt lgkmcnt(7)
	v_mul_f32_e32 v61, v97, v37
	v_fma_f32 v34, v94, v35, -v34
	v_fmac_f32_e32 v61, v96, v36
	v_mul_f32_e32 v35, v97, v36
	s_waitcnt lgkmcnt(6)
	v_mul_f32_e32 v36, v99, v40
	v_fma_f32 v63, v98, v41, -v36
	v_mul_f32_e32 v36, v101, v38
	v_fma_f32 v65, v100, v39, -v36
	;; [unrolled: 2-line block ×3, first 2 shown]
	s_waitcnt lgkmcnt(4)
	v_mul_f32_e32 v36, v105, v44
	v_fma_f32 v69, v104, v45, -v36
	s_waitcnt lgkmcnt(3)
	v_mul_f32_e32 v36, v107, v48
	v_fma_f32 v71, v106, v49, -v36
	v_mul_f32_e32 v36, v109, v46
	v_fma_f32 v73, v108, v47, -v36
	;; [unrolled: 2-line block ×3, first 2 shown]
	s_waitcnt lgkmcnt(1)
	v_mul_f32_e32 v36, v113, v52
	v_fma_f32 v77, v112, v53, -v36
	s_waitcnt lgkmcnt(0)
	v_mul_f32_e32 v36, v115, v56
	v_fma_f32 v79, v114, v57, -v36
	v_mul_f32_e32 v36, v117, v54
	v_fma_f32 v81, v116, v55, -v36
	v_mul_f32_e32 v36, v119, v58
	v_mul_f32_e32 v80, v117, v55
	v_fma_f32 v83, v118, v59, -v36
	v_add_f32_e32 v36, v16, v60
	v_mul_f32_e32 v74, v111, v51
	v_fmac_f32_e32 v80, v116, v54
	v_add_f32_e32 v54, v36, v21
	v_add_f32_e32 v36, v60, v21
	v_fmac_f32_e32 v74, v110, v50
	v_mul_f32_e32 v78, v115, v57
	v_fma_f32 v50, -0.5, v36, v16
	v_fmac_f32_e32 v78, v114, v56
	v_sub_f32_e32 v16, v20, v24
	v_mov_b32_e32 v56, v50
	v_fmac_f32_e32 v56, 0xbf5db3d7, v16
	v_fmac_f32_e32 v50, 0x3f5db3d7, v16
	v_add_f32_e32 v16, v17, v20
	v_add_f32_e32 v55, v16, v24
	;; [unrolled: 1-line block ×3, first 2 shown]
	v_fma_f32 v51, -0.5, v16, v17
	v_sub_f32_e32 v16, v60, v21
	v_mov_b32_e32 v57, v51
	v_fmac_f32_e32 v57, 0x3f5db3d7, v16
	v_fmac_f32_e32 v51, 0xbf5db3d7, v16
	s_barrier
	ds_write2_b64 v247, v[54:55], v[56:57] offset1:90
	ds_write_b64 v247, v[50:51] offset:1440
	buffer_load_dword v50, off, s[24:27], 0 offset:436 ; 4-byte Folded Reload
	v_mul_f32_e32 v76, v113, v53
	v_add_f32_e32 v16, v18, v25
	v_fmac_f32_e32 v76, v112, v52
	v_add_f32_e32 v52, v16, v23
	v_add_f32_e32 v16, v25, v23
	v_mul_f32_e32 v82, v119, v59
	v_fma_f32 v18, -0.5, v16, v18
	v_fmac_f32_e32 v82, v118, v58
	v_sub_f32_e32 v16, v22, v26
	v_mov_b32_e32 v58, v18
	v_fmac_f32_e32 v58, 0xbf5db3d7, v16
	v_fmac_f32_e32 v18, 0x3f5db3d7, v16
	v_add_f32_e32 v16, v19, v22
	v_add_f32_e32 v53, v16, v26
	;; [unrolled: 1-line block ×3, first 2 shown]
	v_fmac_f32_e32 v19, -0.5, v16
	v_sub_f32_e32 v16, v25, v23
	v_mov_b32_e32 v59, v19
	v_fmac_f32_e32 v59, 0x3f5db3d7, v16
	v_fmac_f32_e32 v19, 0xbf5db3d7, v16
	s_waitcnt vmcnt(0)
	ds_write2_b64 v50, v[52:53], v[58:59] offset1:90
	ds_write_b64 v50, v[18:19] offset:1440
	buffer_load_dword v18, off, s[24:27], 0 offset:440 ; 4-byte Folded Reload
	v_mul_f32_e32 v72, v109, v47
	v_add_f32_e32 v16, v12, v27
	v_mul_f32_e32 v68, v105, v45
	v_fmac_f32_e32 v72, v108, v46
	v_add_f32_e32 v46, v16, v29
	v_add_f32_e32 v16, v27, v29
	v_fmac_f32_e32 v68, v104, v44
	v_mul_f32_e32 v70, v107, v49
	v_fma_f32 v44, -0.5, v16, v12
	v_fmac_f32_e32 v70, v106, v48
	v_sub_f32_e32 v12, v28, v32
	v_mov_b32_e32 v48, v44
	v_fmac_f32_e32 v48, 0xbf5db3d7, v12
	v_fmac_f32_e32 v44, 0x3f5db3d7, v12
	v_add_f32_e32 v12, v13, v28
	v_add_f32_e32 v47, v12, v32
	;; [unrolled: 1-line block ×3, first 2 shown]
	v_fma_f32 v45, -0.5, v12, v13
	v_sub_f32_e32 v12, v27, v29
	v_mov_b32_e32 v49, v45
	v_fmac_f32_e32 v49, 0x3f5db3d7, v12
	v_fmac_f32_e32 v45, 0xbf5db3d7, v12
	s_waitcnt vmcnt(0)
	ds_write2_b64 v18, v[46:47], v[48:49] offset1:90
	ds_write_b64 v18, v[44:45] offset:1440
	buffer_load_dword v18, off, s[24:27], 0 offset:444 ; 4-byte Folded Reload
	v_mul_f32_e32 v62, v99, v41
	v_add_f32_e32 v12, v14, v33
	v_fmac_f32_e32 v62, v98, v40
	v_add_f32_e32 v40, v12, v31
	v_add_f32_e32 v12, v33, v31
	v_mul_f32_e32 v66, v103, v43
	v_fma_f32 v14, -0.5, v12, v14
	v_fmac_f32_e32 v66, v102, v42
	v_sub_f32_e32 v12, v30, v34
	v_mov_b32_e32 v42, v14
	v_fmac_f32_e32 v42, 0xbf5db3d7, v12
	v_fmac_f32_e32 v14, 0x3f5db3d7, v12
	v_add_f32_e32 v12, v15, v30
	v_add_f32_e32 v41, v12, v34
	v_add_f32_e32 v12, v30, v34
	v_fmac_f32_e32 v15, -0.5, v12
	v_sub_f32_e32 v12, v33, v31
	v_mov_b32_e32 v43, v15
	v_fmac_f32_e32 v43, 0x3f5db3d7, v12
	v_fmac_f32_e32 v15, 0xbf5db3d7, v12
	s_waitcnt vmcnt(0)
	ds_write2_b64 v18, v[40:41], v[42:43] offset1:90
	ds_write_b64 v18, v[14:15] offset:1440
	buffer_load_dword v14, off, s[24:27], 0 offset:448 ; 4-byte Folded Reload
	v_add_f32_e32 v12, v8, v61
	v_add_f32_e32 v36, v12, v62
	;; [unrolled: 1-line block ×3, first 2 shown]
	v_fma_f32 v35, v96, v37, -v35
	v_mul_f32_e32 v64, v101, v39
	v_fma_f32 v34, -0.5, v12, v8
	v_fmac_f32_e32 v64, v100, v38
	v_sub_f32_e32 v8, v35, v63
	v_mov_b32_e32 v38, v34
	v_fmac_f32_e32 v38, 0xbf5db3d7, v8
	v_fmac_f32_e32 v34, 0x3f5db3d7, v8
	v_add_f32_e32 v8, v9, v35
	v_add_f32_e32 v37, v8, v63
	;; [unrolled: 1-line block ×3, first 2 shown]
	v_fma_f32 v35, -0.5, v8, v9
	v_sub_f32_e32 v8, v61, v62
	v_mov_b32_e32 v39, v35
	v_fmac_f32_e32 v39, 0x3f5db3d7, v8
	v_fmac_f32_e32 v35, 0xbf5db3d7, v8
	s_waitcnt vmcnt(0)
	ds_write2_b64 v14, v[36:37], v[38:39] offset1:90
	ds_write_b64 v14, v[34:35] offset:1440
	buffer_load_dword v14, off, s[24:27], 0 offset:452 ; 4-byte Folded Reload
	v_add_f32_e32 v8, v10, v64
	v_add_f32_e32 v30, v8, v66
	;; [unrolled: 1-line block ×3, first 2 shown]
	v_fma_f32 v10, -0.5, v8, v10
	v_sub_f32_e32 v8, v65, v67
	v_mov_b32_e32 v32, v10
	v_fmac_f32_e32 v32, 0xbf5db3d7, v8
	v_fmac_f32_e32 v10, 0x3f5db3d7, v8
	v_add_f32_e32 v8, v11, v65
	v_add_f32_e32 v31, v8, v67
	;; [unrolled: 1-line block ×3, first 2 shown]
	v_fmac_f32_e32 v11, -0.5, v8
	v_sub_f32_e32 v8, v64, v66
	v_mov_b32_e32 v33, v11
	v_fmac_f32_e32 v33, 0x3f5db3d7, v8
	v_fmac_f32_e32 v11, 0xbf5db3d7, v8
	s_waitcnt vmcnt(0)
	ds_write2_b64 v14, v[30:31], v[32:33] offset1:90
	ds_write_b64 v14, v[10:11] offset:1440
	buffer_load_dword v10, off, s[24:27], 0 offset:456 ; 4-byte Folded Reload
	v_add_f32_e32 v8, v4, v68
	v_add_f32_e32 v26, v8, v70
	;; [unrolled: 1-line block ×3, first 2 shown]
	v_fma_f32 v24, -0.5, v8, v4
	v_sub_f32_e32 v4, v69, v71
	v_mov_b32_e32 v28, v24
	v_fmac_f32_e32 v28, 0xbf5db3d7, v4
	v_fmac_f32_e32 v24, 0x3f5db3d7, v4
	v_add_f32_e32 v4, v5, v69
	v_add_f32_e32 v27, v4, v71
	;; [unrolled: 1-line block ×3, first 2 shown]
	v_fma_f32 v25, -0.5, v4, v5
	v_sub_f32_e32 v4, v68, v70
	v_mov_b32_e32 v29, v25
	v_fmac_f32_e32 v29, 0x3f5db3d7, v4
	v_fmac_f32_e32 v25, 0xbf5db3d7, v4
	s_waitcnt vmcnt(0)
	ds_write2_b64 v10, v[26:27], v[28:29] offset1:90
	ds_write_b64 v10, v[24:25] offset:1440
	buffer_load_dword v10, off, s[24:27], 0 offset:460 ; 4-byte Folded Reload
	v_add_f32_e32 v4, v6, v72
	v_add_f32_e32 v20, v4, v74
	;; [unrolled: 1-line block ×3, first 2 shown]
	v_fma_f32 v6, -0.5, v4, v6
	v_sub_f32_e32 v4, v73, v75
	v_mov_b32_e32 v22, v6
	v_fmac_f32_e32 v22, 0xbf5db3d7, v4
	v_fmac_f32_e32 v6, 0x3f5db3d7, v4
	v_add_f32_e32 v4, v7, v73
	v_add_f32_e32 v21, v4, v75
	;; [unrolled: 1-line block ×3, first 2 shown]
	v_fmac_f32_e32 v7, -0.5, v4
	v_sub_f32_e32 v4, v72, v74
	v_mov_b32_e32 v23, v7
	v_fmac_f32_e32 v23, 0x3f5db3d7, v4
	v_fmac_f32_e32 v7, 0xbf5db3d7, v4
	s_waitcnt vmcnt(0)
	ds_write2_b64 v10, v[20:21], v[22:23] offset1:90
	ds_write_b64 v10, v[6:7] offset:1440
	buffer_load_dword v6, off, s[24:27], 0 offset:464 ; 4-byte Folded Reload
	v_add_f32_e32 v4, v0, v76
	v_add_f32_e32 v12, v4, v78
	;; [unrolled: 1-line block ×3, first 2 shown]
	v_fma_f32 v8, -0.5, v4, v0
	v_sub_f32_e32 v0, v77, v79
	v_mov_b32_e32 v16, v8
	v_fmac_f32_e32 v16, 0xbf5db3d7, v0
	v_fmac_f32_e32 v8, 0x3f5db3d7, v0
	v_add_f32_e32 v0, v1, v77
	v_add_f32_e32 v13, v0, v79
	;; [unrolled: 1-line block ×3, first 2 shown]
	v_fma_f32 v9, -0.5, v0, v1
	v_sub_f32_e32 v0, v76, v78
	v_mov_b32_e32 v17, v9
	v_fmac_f32_e32 v17, 0x3f5db3d7, v0
	v_fmac_f32_e32 v9, 0xbf5db3d7, v0
	s_waitcnt vmcnt(0)
	ds_write2_b64 v6, v[12:13], v[16:17] offset1:90
	ds_write_b64 v6, v[8:9] offset:1440
	buffer_load_dword v6, off, s[24:27], 0 offset:468 ; 4-byte Folded Reload
	v_add_f32_e32 v1, v80, v82
	v_add_f32_e32 v0, v2, v80
	v_fma_f32 v2, -0.5, v1, v2
	v_sub_f32_e32 v1, v81, v83
	v_mov_b32_e32 v4, v2
	v_add_f32_e32 v5, v81, v83
	v_fmac_f32_e32 v4, 0xbf5db3d7, v1
	v_fmac_f32_e32 v2, 0x3f5db3d7, v1
	v_add_f32_e32 v1, v3, v81
	v_fmac_f32_e32 v3, -0.5, v5
	v_sub_f32_e32 v60, v80, v82
	v_mov_b32_e32 v5, v3
	v_add_f32_e32 v0, v0, v82
	v_add_f32_e32 v1, v1, v83
	v_fmac_f32_e32 v5, 0x3f5db3d7, v60
	v_fmac_f32_e32 v3, 0xbf5db3d7, v60
	s_waitcnt vmcnt(0)
	ds_write2_b64 v6, v[0:1], v[4:5] offset0:112 offset1:202
	buffer_load_dword v0, off, s[24:27], 0 offset:472 ; 4-byte Folded Reload
	s_waitcnt vmcnt(0)
	ds_write_b64 v0, v[2:3] offset:18720
	s_waitcnt lgkmcnt(0)
	s_barrier
	ds_read2_b64 v[16:19], v247 offset1:81
	ds_read2_b64 v[20:23], v246 offset0:42 offset1:123
	ds_read2_b64 v[24:27], v233 offset0:84 offset1:165
	;; [unrolled: 1-line block ×14, first 2 shown]
	s_waitcnt lgkmcnt(13)
	v_mul_f32_e32 v60, v121, v21
	v_fmac_f32_e32 v60, v120, v20
	v_mul_f32_e32 v20, v121, v20
	v_fma_f32 v20, v120, v21, -v20
	s_waitcnt lgkmcnt(12)
	v_mul_f32_e32 v21, v123, v25
	v_fmac_f32_e32 v21, v122, v24
	v_mul_f32_e32 v24, v123, v24
	v_fma_f32 v24, v122, v25, -v24
	v_mul_f32_e32 v25, v129, v23
	v_fmac_f32_e32 v25, v128, v22
	v_mul_f32_e32 v22, v129, v22
	v_fma_f32 v22, v128, v23, -v22
	v_mul_f32_e32 v23, v131, v27
	v_fmac_f32_e32 v23, v130, v26
	v_mul_f32_e32 v26, v131, v26
	v_fma_f32 v26, v130, v27, -v26
	s_waitcnt lgkmcnt(10)
	v_mul_f32_e32 v27, v125, v29
	v_fmac_f32_e32 v27, v124, v28
	v_mul_f32_e32 v28, v125, v28
	v_fma_f32 v28, v124, v29, -v28
	s_waitcnt lgkmcnt(9)
	v_mul_f32_e32 v29, v127, v33
	v_fmac_f32_e32 v29, v126, v32
	v_mul_f32_e32 v32, v127, v32
	v_fma_f32 v32, v126, v33, -v32
	v_mul_f32_e32 v33, v133, v31
	v_fmac_f32_e32 v33, v132, v30
	v_mul_f32_e32 v30, v133, v30
	v_fma_f32 v30, v132, v31, -v30
	;; [unrolled: 4-line block ×3, first 2 shown]
	s_waitcnt lgkmcnt(7)
	v_mul_f32_e32 v35, v137, v37
	v_fmac_f32_e32 v35, v136, v36
	v_mul_f32_e32 v36, v137, v36
	v_fma_f32 v36, v136, v37, -v36
	s_waitcnt lgkmcnt(6)
	v_mul_f32_e32 v37, v139, v41
	v_fmac_f32_e32 v37, v138, v40
	v_mul_f32_e32 v40, v139, v40
	v_fma_f32 v40, v138, v41, -v40
	v_mul_f32_e32 v41, v141, v39
	v_fmac_f32_e32 v41, v140, v38
	v_mul_f32_e32 v38, v141, v38
	v_fma_f32 v61, v140, v39, -v38
	v_mul_f32_e32 v38, v143, v42
	v_fma_f32 v63, v142, v43, -v38
	s_waitcnt lgkmcnt(4)
	v_mul_f32_e32 v38, v145, v44
	v_fma_f32 v65, v144, v45, -v38
	s_waitcnt lgkmcnt(3)
	v_mul_f32_e32 v38, v147, v48
	v_fma_f32 v67, v146, v49, -v38
	v_mul_f32_e32 v38, v149, v46
	v_fma_f32 v69, v148, v47, -v38
	;; [unrolled: 2-line block ×3, first 2 shown]
	s_waitcnt lgkmcnt(1)
	v_mul_f32_e32 v38, v153, v52
	v_fma_f32 v73, v152, v53, -v38
	s_waitcnt lgkmcnt(0)
	v_mul_f32_e32 v38, v155, v56
	v_fma_f32 v75, v154, v57, -v38
	v_mul_f32_e32 v38, v157, v54
	v_fma_f32 v77, v156, v55, -v38
	v_mul_f32_e32 v38, v159, v58
	v_mul_f32_e32 v62, v143, v43
	v_fma_f32 v79, v158, v59, -v38
	v_add_f32_e32 v38, v16, v60
	v_fmac_f32_e32 v62, v142, v42
	v_mul_f32_e32 v66, v147, v49
	v_add_f32_e32 v42, v38, v21
	v_add_f32_e32 v38, v60, v21
	v_fmac_f32_e32 v66, v146, v48
	v_mul_f32_e32 v70, v151, v51
	v_fma_f32 v48, -0.5, v38, v16
	v_fmac_f32_e32 v70, v150, v50
	v_sub_f32_e32 v16, v20, v24
	v_mov_b32_e32 v50, v48
	v_fmac_f32_e32 v50, 0xbf5db3d7, v16
	v_fmac_f32_e32 v48, 0x3f5db3d7, v16
	v_add_f32_e32 v16, v17, v20
	v_add_f32_e32 v43, v16, v24
	v_add_f32_e32 v16, v20, v24
	v_fma_f32 v49, -0.5, v16, v17
	v_sub_f32_e32 v16, v60, v21
	v_mov_b32_e32 v51, v49
	v_mul_f32_e32 v72, v153, v53
	v_fmac_f32_e32 v51, 0x3f5db3d7, v16
	v_fmac_f32_e32 v49, 0xbf5db3d7, v16
	v_add_f32_e32 v16, v18, v25
	v_fmac_f32_e32 v72, v152, v52
	v_add_f32_e32 v52, v16, v23
	v_add_f32_e32 v16, v25, v23
	v_mul_f32_e32 v76, v157, v55
	v_fma_f32 v18, -0.5, v16, v18
	v_fmac_f32_e32 v76, v156, v54
	v_sub_f32_e32 v16, v22, v26
	v_mov_b32_e32 v54, v18
	v_fmac_f32_e32 v54, 0xbf5db3d7, v16
	v_fmac_f32_e32 v18, 0x3f5db3d7, v16
	v_add_f32_e32 v16, v19, v22
	v_add_f32_e32 v53, v16, v26
	;; [unrolled: 1-line block ×3, first 2 shown]
	v_fmac_f32_e32 v19, -0.5, v16
	v_sub_f32_e32 v16, v25, v23
	v_mov_b32_e32 v55, v19
	v_mul_f32_e32 v74, v155, v57
	v_fmac_f32_e32 v55, 0x3f5db3d7, v16
	v_fmac_f32_e32 v19, 0xbf5db3d7, v16
	v_add_f32_e32 v16, v12, v27
	v_fmac_f32_e32 v74, v154, v56
	v_add_f32_e32 v56, v16, v29
	v_add_f32_e32 v16, v27, v29
	v_mul_f32_e32 v78, v159, v59
	v_fma_f32 v38, -0.5, v16, v12
	v_fmac_f32_e32 v78, v158, v58
	v_sub_f32_e32 v12, v28, v32
	v_mov_b32_e32 v58, v38
	v_fmac_f32_e32 v58, 0xbf5db3d7, v12
	v_fmac_f32_e32 v38, 0x3f5db3d7, v12
	v_add_f32_e32 v12, v13, v28
	v_add_f32_e32 v57, v12, v32
	;; [unrolled: 1-line block ×3, first 2 shown]
	v_fma_f32 v39, -0.5, v12, v13
	v_sub_f32_e32 v12, v27, v29
	v_mov_b32_e32 v59, v39
	v_fmac_f32_e32 v59, 0x3f5db3d7, v12
	v_fmac_f32_e32 v39, 0xbf5db3d7, v12
	s_barrier
	ds_write_b64 v247, v[50:51] offset:2160
	ds_write_b64 v247, v[48:49] offset:4320
	ds_write2_b64 v247, v[42:43], v[52:53] offset1:81
	ds_write_b64 v247, v[56:57] offset:1296
	ds_write2_b64 v251, v[54:55], v[58:59] offset0:95 offset1:176
	ds_write2_b64 v250, v[18:19], v[38:39] offset0:109 offset1:190
	buffer_load_dword v18, off, s[24:27], 0 offset:476 ; 4-byte Folded Reload
	v_mul_f32_e32 v64, v145, v45
	v_add_f32_e32 v12, v14, v33
	v_fmac_f32_e32 v64, v144, v44
	v_add_f32_e32 v44, v12, v31
	v_add_f32_e32 v12, v33, v31
	v_mul_f32_e32 v68, v149, v47
	v_fma_f32 v14, -0.5, v12, v14
	v_fmac_f32_e32 v68, v148, v46
	v_sub_f32_e32 v12, v30, v34
	v_mov_b32_e32 v46, v14
	v_fmac_f32_e32 v46, 0xbf5db3d7, v12
	v_fmac_f32_e32 v14, 0x3f5db3d7, v12
	v_add_f32_e32 v12, v15, v30
	v_add_f32_e32 v45, v12, v34
	;; [unrolled: 1-line block ×3, first 2 shown]
	v_fmac_f32_e32 v15, -0.5, v12
	v_sub_f32_e32 v12, v33, v31
	v_mov_b32_e32 v47, v15
	v_fmac_f32_e32 v47, 0x3f5db3d7, v12
	v_fmac_f32_e32 v15, 0xbf5db3d7, v12
	v_add_f32_e32 v12, v8, v35
	v_add_f32_e32 v32, v12, v37
	v_add_f32_e32 v12, v35, v37
	v_fma_f32 v30, -0.5, v12, v8
	v_sub_f32_e32 v8, v36, v40
	v_mov_b32_e32 v34, v30
	v_fmac_f32_e32 v34, 0xbf5db3d7, v8
	v_fmac_f32_e32 v30, 0x3f5db3d7, v8
	v_add_f32_e32 v8, v9, v36
	v_add_f32_e32 v33, v8, v40
	v_add_f32_e32 v8, v36, v40
	v_fma_f32 v31, -0.5, v8, v9
	v_sub_f32_e32 v8, v35, v37
	v_mov_b32_e32 v35, v31
	v_fmac_f32_e32 v35, 0x3f5db3d7, v8
	v_fmac_f32_e32 v31, 0xbf5db3d7, v8
	v_add_f32_e32 v8, v10, v41
	v_add_f32_e32 v36, v8, v62
	v_add_f32_e32 v8, v41, v62
	v_fma_f32 v10, -0.5, v8, v10
	v_sub_f32_e32 v8, v61, v63
	v_mov_b32_e32 v40, v10
	v_fmac_f32_e32 v40, 0xbf5db3d7, v8
	v_fmac_f32_e32 v10, 0x3f5db3d7, v8
	v_add_f32_e32 v8, v11, v61
	v_add_f32_e32 v37, v8, v63
	;; [unrolled: 1-line block ×3, first 2 shown]
	v_fmac_f32_e32 v11, -0.5, v8
	v_sub_f32_e32 v8, v41, v62
	v_mov_b32_e32 v41, v11
	v_fmac_f32_e32 v41, 0x3f5db3d7, v8
	v_fmac_f32_e32 v11, 0xbf5db3d7, v8
	s_waitcnt vmcnt(0)
	ds_write_b64 v18, v[44:45]
	ds_write_b64 v18, v[46:47] offset:2160
	ds_write_b64 v18, v[14:15] offset:4320
	ds_write2_b64 v246, v[32:33], v[36:37] offset0:96 offset1:177
	ds_write2_b64 v253, v[34:35], v[40:41] offset0:110 offset1:191
	;; [unrolled: 1-line block ×3, first 2 shown]
	buffer_load_dword v10, off, s[24:27], 0 offset:480 ; 4-byte Folded Reload
	v_add_f32_e32 v8, v4, v64
	v_add_f32_e32 v28, v8, v66
	;; [unrolled: 1-line block ×3, first 2 shown]
	v_fma_f32 v20, -0.5, v8, v4
	v_sub_f32_e32 v4, v65, v67
	v_mov_b32_e32 v22, v20
	v_fmac_f32_e32 v22, 0xbf5db3d7, v4
	v_fmac_f32_e32 v20, 0x3f5db3d7, v4
	v_add_f32_e32 v4, v5, v65
	v_add_f32_e32 v29, v4, v67
	;; [unrolled: 1-line block ×3, first 2 shown]
	v_fma_f32 v21, -0.5, v4, v5
	v_sub_f32_e32 v4, v64, v66
	v_mov_b32_e32 v23, v21
	v_fmac_f32_e32 v23, 0x3f5db3d7, v4
	v_fmac_f32_e32 v21, 0xbf5db3d7, v4
	s_waitcnt vmcnt(0)
	ds_write_b64 v10, v[28:29]
	ds_write_b64 v10, v[22:23] offset:2160
	ds_write_b64 v10, v[20:21] offset:4320
	buffer_load_dword v10, off, s[24:27], 0 offset:484 ; 4-byte Folded Reload
	v_add_f32_e32 v4, v6, v68
	v_add_f32_e32 v24, v4, v70
	;; [unrolled: 1-line block ×3, first 2 shown]
	v_fma_f32 v6, -0.5, v4, v6
	v_sub_f32_e32 v4, v69, v71
	v_mov_b32_e32 v26, v6
	v_fmac_f32_e32 v26, 0xbf5db3d7, v4
	v_fmac_f32_e32 v6, 0x3f5db3d7, v4
	v_add_f32_e32 v4, v7, v69
	v_add_f32_e32 v25, v4, v71
	;; [unrolled: 1-line block ×3, first 2 shown]
	v_fmac_f32_e32 v7, -0.5, v4
	v_sub_f32_e32 v4, v68, v70
	v_mov_b32_e32 v27, v7
	v_fmac_f32_e32 v27, 0x3f5db3d7, v4
	v_fmac_f32_e32 v7, 0xbf5db3d7, v4
	s_waitcnt vmcnt(0)
	ds_write_b64 v10, v[24:25] offset:12960
	ds_write_b64 v10, v[26:27] offset:15120
	;; [unrolled: 1-line block ×3, first 2 shown]
	buffer_load_dword v6, off, s[24:27], 0 offset:488 ; 4-byte Folded Reload
	v_add_f32_e32 v4, v0, v72
	v_add_f32_e32 v12, v4, v74
	;; [unrolled: 1-line block ×3, first 2 shown]
	v_fma_f32 v0, -0.5, v4, v0
	v_sub_f32_e32 v4, v73, v75
	v_mov_b32_e32 v16, v0
	v_fmac_f32_e32 v16, 0xbf5db3d7, v4
	v_fmac_f32_e32 v0, 0x3f5db3d7, v4
	v_add_f32_e32 v4, v1, v73
	v_add_f32_e32 v13, v4, v75
	;; [unrolled: 1-line block ×3, first 2 shown]
	v_fma_f32 v1, -0.5, v4, v1
	v_sub_f32_e32 v4, v72, v74
	v_mov_b32_e32 v17, v1
	v_fmac_f32_e32 v17, 0x3f5db3d7, v4
	v_fmac_f32_e32 v1, 0xbf5db3d7, v4
	s_waitcnt vmcnt(0)
	ds_write_b64 v6, v[12:13] offset:12960
	ds_write_b64 v6, v[16:17] offset:15120
	;; [unrolled: 1-line block ×3, first 2 shown]
	buffer_load_dword v0, off, s[24:27], 0 offset:492 ; 4-byte Folded Reload
	v_add_f32_e32 v5, v76, v78
	v_add_f32_e32 v4, v2, v76
	v_fma_f32 v2, -0.5, v5, v2
	v_sub_f32_e32 v5, v77, v79
	v_mov_b32_e32 v8, v2
	v_add_f32_e32 v9, v77, v79
	v_fmac_f32_e32 v8, 0xbf5db3d7, v5
	v_fmac_f32_e32 v2, 0x3f5db3d7, v5
	v_add_f32_e32 v5, v3, v77
	v_fmac_f32_e32 v3, -0.5, v9
	v_sub_f32_e32 v60, v76, v78
	v_mov_b32_e32 v9, v3
	v_add_f32_e32 v4, v4, v78
	v_add_f32_e32 v5, v5, v79
	v_fmac_f32_e32 v9, 0x3f5db3d7, v60
	v_fmac_f32_e32 v3, 0xbf5db3d7, v60
	s_waitcnt vmcnt(0)
	ds_write_b64 v0, v[4:5] offset:12960
	ds_write_b64 v0, v[8:9] offset:15120
	;; [unrolled: 1-line block ×3, first 2 shown]
	s_waitcnt lgkmcnt(0)
	s_barrier
	ds_read2_b64 v[16:19], v247 offset1:81
	ds_read2_b64 v[20:23], v246 offset0:42 offset1:123
	ds_read2_b64 v[24:27], v233 offset0:84 offset1:165
	;; [unrolled: 1-line block ×14, first 2 shown]
	s_waitcnt lgkmcnt(13)
	v_mul_f32_e32 v60, v161, v21
	v_fmac_f32_e32 v60, v160, v20
	v_mul_f32_e32 v20, v161, v20
	v_fma_f32 v20, v160, v21, -v20
	s_waitcnt lgkmcnt(12)
	v_mul_f32_e32 v21, v163, v25
	v_fmac_f32_e32 v21, v162, v24
	v_mul_f32_e32 v24, v163, v24
	v_fma_f32 v24, v162, v25, -v24
	v_mul_f32_e32 v25, v165, v23
	v_fmac_f32_e32 v25, v164, v22
	v_mul_f32_e32 v22, v165, v22
	v_fma_f32 v22, v164, v23, -v22
	v_mul_f32_e32 v23, v167, v27
	v_fmac_f32_e32 v23, v166, v26
	v_mul_f32_e32 v26, v167, v26
	v_fma_f32 v26, v166, v27, -v26
	s_waitcnt lgkmcnt(10)
	v_mul_f32_e32 v27, v169, v29
	v_fmac_f32_e32 v27, v168, v28
	v_mul_f32_e32 v28, v169, v28
	v_fma_f32 v28, v168, v29, -v28
	s_waitcnt lgkmcnt(9)
	v_mul_f32_e32 v29, v171, v33
	v_fmac_f32_e32 v29, v170, v32
	v_mul_f32_e32 v32, v171, v32
	v_fma_f32 v32, v170, v33, -v32
	v_mul_f32_e32 v33, v173, v31
	v_fmac_f32_e32 v33, v172, v30
	v_mul_f32_e32 v30, v173, v30
	v_fma_f32 v30, v172, v31, -v30
	;; [unrolled: 4-line block ×3, first 2 shown]
	s_waitcnt lgkmcnt(7)
	v_mul_f32_e32 v35, v177, v37
	v_fmac_f32_e32 v35, v176, v36
	v_mul_f32_e32 v36, v177, v36
	v_fma_f32 v37, v176, v37, -v36
	s_waitcnt lgkmcnt(6)
	v_mul_f32_e32 v36, v179, v40
	v_fma_f32 v62, v178, v41, -v36
	v_mul_f32_e32 v36, v181, v38
	v_fma_f32 v64, v180, v39, -v36
	;; [unrolled: 2-line block ×3, first 2 shown]
	s_waitcnt lgkmcnt(4)
	v_mul_f32_e32 v36, v185, v44
	v_fma_f32 v68, v184, v45, -v36
	s_waitcnt lgkmcnt(3)
	v_mul_f32_e32 v36, v187, v48
	v_fma_f32 v70, v186, v49, -v36
	v_mul_f32_e32 v36, v189, v46
	v_fma_f32 v72, v188, v47, -v36
	;; [unrolled: 2-line block ×3, first 2 shown]
	s_waitcnt lgkmcnt(1)
	v_mul_f32_e32 v36, v193, v52
	v_fma_f32 v76, v192, v53, -v36
	s_waitcnt lgkmcnt(0)
	v_mul_f32_e32 v36, v195, v56
	v_fma_f32 v78, v194, v57, -v36
	v_mul_f32_e32 v36, v197, v54
	v_fma_f32 v80, v196, v55, -v36
	v_mul_f32_e32 v36, v199, v58
	v_mul_f32_e32 v67, v185, v45
	v_fma_f32 v82, v198, v59, -v36
	v_add_f32_e32 v36, v16, v60
	v_fmac_f32_e32 v67, v184, v44
	v_mul_f32_e32 v73, v191, v51
	v_add_f32_e32 v44, v36, v21
	v_add_f32_e32 v36, v60, v21
	v_fmac_f32_e32 v73, v190, v50
	v_mul_f32_e32 v75, v193, v53
	v_fma_f32 v50, -0.5, v36, v16
	v_fmac_f32_e32 v75, v192, v52
	v_sub_f32_e32 v16, v20, v24
	v_mov_b32_e32 v52, v50
	v_fmac_f32_e32 v52, 0xbf5db3d7, v16
	v_fmac_f32_e32 v50, 0x3f5db3d7, v16
	v_add_f32_e32 v16, v17, v20
	v_add_f32_e32 v45, v16, v24
	;; [unrolled: 1-line block ×3, first 2 shown]
	v_fma_f32 v51, -0.5, v16, v17
	v_sub_f32_e32 v16, v60, v21
	v_mov_b32_e32 v53, v51
	v_mul_f32_e32 v79, v197, v55
	v_fmac_f32_e32 v53, 0x3f5db3d7, v16
	v_fmac_f32_e32 v51, 0xbf5db3d7, v16
	v_add_f32_e32 v16, v18, v25
	v_fmac_f32_e32 v79, v196, v54
	v_add_f32_e32 v54, v16, v23
	v_add_f32_e32 v16, v25, v23
	v_mul_f32_e32 v77, v195, v57
	v_fma_f32 v18, -0.5, v16, v18
	v_fmac_f32_e32 v77, v194, v56
	v_sub_f32_e32 v16, v22, v26
	v_mov_b32_e32 v56, v18
	v_fmac_f32_e32 v56, 0xbf5db3d7, v16
	v_fmac_f32_e32 v18, 0x3f5db3d7, v16
	v_add_f32_e32 v16, v19, v22
	v_add_f32_e32 v55, v16, v26
	;; [unrolled: 1-line block ×3, first 2 shown]
	v_fmac_f32_e32 v19, -0.5, v16
	v_sub_f32_e32 v16, v25, v23
	v_mov_b32_e32 v57, v19
	v_mul_f32_e32 v63, v181, v39
	v_fmac_f32_e32 v57, 0x3f5db3d7, v16
	v_fmac_f32_e32 v19, 0xbf5db3d7, v16
	v_add_f32_e32 v16, v12, v27
	v_fmac_f32_e32 v63, v180, v38
	v_mul_f32_e32 v71, v189, v47
	v_add_f32_e32 v38, v16, v29
	v_add_f32_e32 v16, v27, v29
	v_fmac_f32_e32 v71, v188, v46
	v_mul_f32_e32 v81, v199, v59
	v_fma_f32 v46, -0.5, v16, v12
	v_fmac_f32_e32 v81, v198, v58
	v_sub_f32_e32 v12, v28, v32
	v_mov_b32_e32 v58, v46
	v_fmac_f32_e32 v58, 0xbf5db3d7, v12
	v_fmac_f32_e32 v46, 0x3f5db3d7, v12
	v_add_f32_e32 v12, v13, v28
	v_add_f32_e32 v39, v12, v32
	;; [unrolled: 1-line block ×3, first 2 shown]
	v_fma_f32 v47, -0.5, v12, v13
	v_sub_f32_e32 v12, v27, v29
	v_mov_b32_e32 v59, v47
	v_mul_f32_e32 v61, v179, v41
	v_fmac_f32_e32 v59, 0x3f5db3d7, v12
	v_fmac_f32_e32 v47, 0xbf5db3d7, v12
	v_add_f32_e32 v12, v14, v33
	v_fmac_f32_e32 v61, v178, v40
	v_add_f32_e32 v40, v12, v31
	v_add_f32_e32 v12, v33, v31
	v_mul_f32_e32 v65, v183, v43
	v_fma_f32 v14, -0.5, v12, v14
	v_fmac_f32_e32 v65, v182, v42
	v_sub_f32_e32 v12, v30, v34
	v_mov_b32_e32 v42, v14
	v_fmac_f32_e32 v42, 0xbf5db3d7, v12
	v_fmac_f32_e32 v14, 0x3f5db3d7, v12
	v_add_f32_e32 v12, v15, v30
	v_add_f32_e32 v41, v12, v34
	;; [unrolled: 1-line block ×3, first 2 shown]
	v_fmac_f32_e32 v15, -0.5, v12
	v_sub_f32_e32 v12, v33, v31
	v_mov_b32_e32 v43, v15
	v_fmac_f32_e32 v43, 0x3f5db3d7, v12
	v_fmac_f32_e32 v15, 0xbf5db3d7, v12
	v_add_f32_e32 v12, v8, v35
	v_add_f32_e32 v22, v12, v61
	;; [unrolled: 1-line block ×3, first 2 shown]
	v_mul_f32_e32 v69, v187, v49
	v_fma_f32 v36, -0.5, v12, v8
	v_fmac_f32_e32 v69, v186, v48
	v_sub_f32_e32 v8, v37, v62
	v_mov_b32_e32 v48, v36
	v_fmac_f32_e32 v48, 0xbf5db3d7, v8
	v_fmac_f32_e32 v36, 0x3f5db3d7, v8
	v_add_f32_e32 v8, v9, v37
	v_add_f32_e32 v23, v8, v62
	;; [unrolled: 1-line block ×3, first 2 shown]
	v_fma_f32 v37, -0.5, v8, v9
	v_sub_f32_e32 v8, v35, v61
	v_mov_b32_e32 v49, v37
	v_fmac_f32_e32 v49, 0x3f5db3d7, v8
	v_fmac_f32_e32 v37, 0xbf5db3d7, v8
	v_add_f32_e32 v8, v10, v63
	v_add_f32_e32 v30, v8, v65
	;; [unrolled: 1-line block ×3, first 2 shown]
	v_fma_f32 v10, -0.5, v8, v10
	v_sub_f32_e32 v9, v64, v66
	v_mov_b32_e32 v8, v10
	v_fmac_f32_e32 v8, 0xbf5db3d7, v9
	v_fmac_f32_e32 v10, 0x3f5db3d7, v9
	v_add_f32_e32 v9, v11, v64
	v_add_f32_e32 v31, v9, v66
	;; [unrolled: 1-line block ×3, first 2 shown]
	v_fmac_f32_e32 v11, -0.5, v9
	v_sub_f32_e32 v12, v63, v65
	v_mov_b32_e32 v9, v11
	v_add_f32_e32 v13, v67, v69
	v_fmac_f32_e32 v9, 0x3f5db3d7, v12
	v_fmac_f32_e32 v11, 0xbf5db3d7, v12
	v_add_f32_e32 v12, v4, v67
	v_fma_f32 v4, -0.5, v13, v4
	v_sub_f32_e32 v13, v68, v70
	v_mov_b32_e32 v20, v4
	v_add_f32_e32 v16, v68, v70
	v_fmac_f32_e32 v20, 0xbf5db3d7, v13
	v_fmac_f32_e32 v4, 0x3f5db3d7, v13
	v_add_f32_e32 v13, v5, v68
	v_fma_f32 v5, -0.5, v16, v5
	v_sub_f32_e32 v16, v67, v69
	v_mov_b32_e32 v21, v5
	v_fmac_f32_e32 v21, 0x3f5db3d7, v16
	v_fmac_f32_e32 v5, 0xbf5db3d7, v16
	v_add_f32_e32 v16, v6, v71
	v_add_f32_e32 v24, v16, v73
	;; [unrolled: 1-line block ×3, first 2 shown]
	v_fma_f32 v6, -0.5, v16, v6
	v_sub_f32_e32 v17, v72, v74
	v_mov_b32_e32 v16, v6
	v_fmac_f32_e32 v16, 0xbf5db3d7, v17
	v_fmac_f32_e32 v6, 0x3f5db3d7, v17
	v_add_f32_e32 v17, v7, v72
	v_add_f32_e32 v25, v17, v74
	;; [unrolled: 1-line block ×3, first 2 shown]
	v_fmac_f32_e32 v7, -0.5, v17
	v_sub_f32_e32 v26, v71, v73
	v_mov_b32_e32 v17, v7
	v_add_f32_e32 v27, v75, v77
	v_fmac_f32_e32 v17, 0x3f5db3d7, v26
	v_fmac_f32_e32 v7, 0xbf5db3d7, v26
	v_add_f32_e32 v26, v0, v75
	v_fma_f32 v0, -0.5, v27, v0
	v_sub_f32_e32 v27, v76, v78
	v_mov_b32_e32 v28, v0
	v_add_f32_e32 v29, v76, v78
	v_fmac_f32_e32 v28, 0xbf5db3d7, v27
	v_fmac_f32_e32 v0, 0x3f5db3d7, v27
	v_add_f32_e32 v27, v1, v76
	v_fma_f32 v1, -0.5, v29, v1
	;; [unrolled: 7-line block ×3, first 2 shown]
	v_sub_f32_e32 v33, v80, v82
	v_mov_b32_e32 v34, v2
	v_add_f32_e32 v35, v80, v82
	v_fmac_f32_e32 v34, 0xbf5db3d7, v33
	v_fmac_f32_e32 v2, 0x3f5db3d7, v33
	v_add_f32_e32 v33, v3, v80
	v_fmac_f32_e32 v3, -0.5, v35
	ds_write_b64 v247, v[52:53] offset:6480
	ds_write_b64 v247, v[50:51] offset:12960
	ds_write2_b64 v247, v[44:45], v[54:55] offset1:81
	ds_write2_b64 v246, v[56:57], v[58:59] offset0:123 offset1:204
	ds_write2_b64 v233, v[18:19], v[46:47] offset0:165 offset1:246
	;; [unrolled: 1-line block ×6, first 2 shown]
	v_add_u32_e32 v14, 0x2400, v247
	v_add_f32_e32 v12, v12, v69
	v_add_f32_e32 v13, v13, v70
	v_sub_f32_e32 v60, v79, v81
	v_mov_b32_e32 v35, v3
	ds_write2_b64 v14, v[8:9], v[20:21] offset0:63 offset1:144
	v_add_u32_e32 v8, 0x3c00, v247
	v_add_f32_e32 v26, v26, v77
	v_add_f32_e32 v27, v27, v78
	;; [unrolled: 1-line block ×4, first 2 shown]
	v_fmac_f32_e32 v35, 0x3f5db3d7, v60
	v_fmac_f32_e32 v3, 0xbf5db3d7, v60
	ds_write2_b64 v8, v[10:11], v[4:5] offset0:105 offset1:186
	ds_write2_b64 v249, v[12:13], v[24:25] offset0:102 offset1:183
	ds_write_b64 v247, v[6:7] offset:17496
	ds_write2_b64 v230, v[16:17], v[28:29] offset0:97 offset1:178
	ds_write2_b64 v250, v[26:27], v[32:33] offset0:136 offset1:217
	ds_write_b64 v247, v[34:35] offset:12312
	ds_write2_b64 v229, v[0:1], v[2:3] offset0:92 offset1:173
	s_waitcnt lgkmcnt(0)
	s_barrier
	ds_read2_b64 v[10:13], v247 offset1:81
	buffer_load_dword v1, off, s[24:27], 0 offset:232 ; 4-byte Folded Reload
	buffer_load_dword v2, off, s[24:27], 0 offset:236 ; 4-byte Folded Reload
	;; [unrolled: 1-line block ×3, first 2 shown]
	v_mov_b32_e32 v6, s13
	v_mov_b32_e32 v30, 0xffffbe30
	s_waitcnt vmcnt(1) lgkmcnt(0)
	v_mul_f32_e32 v0, v2, v11
	v_fmac_f32_e32 v0, v1, v10
	v_mov_b32_e32 v3, v2
	v_mov_b32_e32 v2, v1
	v_cvt_f64_f32_e32 v[0:1], v0
	v_mul_f64 v[0:1], v[0:1], s[2:3]
	v_cvt_f32_f64_e32 v0, v[0:1]
	v_mul_f32_e32 v1, v3, v10
	v_fma_f32 v1, v2, v11, -v1
	v_cvt_f64_f32_e32 v[1:2], v1
	v_mul_f64 v[1:2], v[1:2], s[2:3]
	v_cvt_f32_f64_e32 v1, v[1:2]
	s_waitcnt vmcnt(0)
	v_mad_u64_u32 v[2:3], s[4:5], s0, v4, 0
	v_mad_u64_u32 v[3:4], s[4:5], s1, v4, v[3:4]
	buffer_load_dword v4, off, s[24:27], 0 offset:192 ; 4-byte Folded Reload
	buffer_load_dword v5, off, s[24:27], 0 offset:196 ; 4-byte Folded Reload
	s_mul_i32 s4, s1, 0x798
	v_lshlrev_b64 v[2:3], 3, v[2:3]
	s_mul_hi_u32 s5, s0, 0x798
	s_add_i32 s4, s5, s4
	s_mul_i32 s5, s0, 0x798
	s_mulk_i32 s1, 0xbe30
	s_sub_i32 s1, s1, s0
	s_waitcnt vmcnt(0)
	v_lshlrev_b64 v[4:5], 3, v[4:5]
	v_add_co_u32_e32 v4, vcc, s12, v4
	v_addc_co_u32_e32 v5, vcc, v6, v5, vcc
	v_add_co_u32_e32 v4, vcc, v4, v2
	v_addc_co_u32_e32 v5, vcc, v5, v3, vcc
	global_store_dwordx2 v[4:5], v[0:1], off
	ds_read2_b64 v[0:3], v247 offset0:162 offset1:243
	buffer_load_dword v7, off, s[24:27], 0 offset:224 ; 4-byte Folded Reload
	buffer_load_dword v8, off, s[24:27], 0 offset:228 ; 4-byte Folded Reload
	ds_read2_b64 v[14:17], v249 offset0:102 offset1:183
	s_waitcnt vmcnt(0) lgkmcnt(1)
	v_mul_f32_e32 v6, v8, v3
	v_mov_b32_e32 v9, v8
	v_fmac_f32_e32 v6, v7, v2
	v_mov_b32_e32 v8, v7
	v_mul_f32_e32 v2, v9, v2
	v_fma_f32 v2, v8, v3, -v2
	v_cvt_f64_f32_e32 v[6:7], v6
	v_cvt_f64_f32_e32 v[2:3], v2
	v_mul_f64 v[6:7], v[6:7], s[2:3]
	v_mul_f64 v[2:3], v[2:3], s[2:3]
	v_cvt_f32_f64_e32 v6, v[6:7]
	v_cvt_f32_f64_e32 v7, v[2:3]
	v_add_co_u32_e32 v2, vcc, s5, v4
	v_mov_b32_e32 v3, s4
	v_addc_co_u32_e32 v3, vcc, v5, v3, vcc
	global_store_dwordx2 v[2:3], v[6:7], off
	buffer_load_dword v5, off, s[24:27], 0 offset:208 ; 4-byte Folded Reload
	s_nop 0
	buffer_load_dword v6, off, s[24:27], 0 offset:212 ; 4-byte Folded Reload
	s_waitcnt vmcnt(0) lgkmcnt(0)
	v_mul_f32_e32 v4, v6, v15
	v_fmac_f32_e32 v4, v5, v14
	v_mov_b32_e32 v7, v6
	v_mov_b32_e32 v6, v5
	v_cvt_f64_f32_e32 v[4:5], v4
	v_mul_f64 v[4:5], v[4:5], s[2:3]
	v_cvt_f32_f64_e32 v4, v[4:5]
	v_mul_f32_e32 v5, v7, v14
	v_fma_f32 v5, v6, v15, -v5
	v_cvt_f64_f32_e32 v[5:6], v5
	v_mul_f64 v[5:6], v[5:6], s[2:3]
	v_cvt_f32_f64_e32 v5, v[5:6]
	v_add_co_u32_e32 v6, vcc, s5, v2
	v_mov_b32_e32 v2, s4
	v_addc_co_u32_e32 v7, vcc, v3, v2, vcc
	global_store_dwordx2 v[6:7], v[4:5], off
	ds_read2_b64 v[2:5], v250 offset0:136 offset1:217
	buffer_load_dword v9, off, s[24:27], 0 offset:216 ; 4-byte Folded Reload
	buffer_load_dword v10, off, s[24:27], 0 offset:220 ; 4-byte Folded Reload
	ds_read2_b64 v[18:21], v255 offset0:76 offset1:157
	s_waitcnt vmcnt(0) lgkmcnt(1)
	v_mul_f32_e32 v8, v10, v5
	v_mov_b32_e32 v11, v10
	v_fmac_f32_e32 v8, v9, v4
	v_mov_b32_e32 v10, v9
	v_mul_f32_e32 v4, v11, v4
	v_fma_f32 v4, v10, v5, -v4
	v_cvt_f64_f32_e32 v[8:9], v8
	v_cvt_f64_f32_e32 v[4:5], v4
	v_mul_f64 v[8:9], v[8:9], s[2:3]
	v_mul_f64 v[4:5], v[4:5], s[2:3]
	v_cvt_f32_f64_e32 v8, v[8:9]
	v_cvt_f32_f64_e32 v9, v[4:5]
	v_add_co_u32_e32 v4, vcc, s5, v6
	v_mov_b32_e32 v5, s4
	v_addc_co_u32_e32 v5, vcc, v7, v5, vcc
	global_store_dwordx2 v[4:5], v[8:9], off
	buffer_load_dword v7, off, s[24:27], 0 offset:200 ; 4-byte Folded Reload
	s_nop 0
	buffer_load_dword v8, off, s[24:27], 0 offset:204 ; 4-byte Folded Reload
	s_waitcnt vmcnt(0) lgkmcnt(0)
	v_mul_f32_e32 v6, v8, v19
	v_fmac_f32_e32 v6, v7, v18
	v_mov_b32_e32 v9, v8
	v_mov_b32_e32 v8, v7
	v_cvt_f64_f32_e32 v[6:7], v6
	v_mul_f64 v[6:7], v[6:7], s[2:3]
	v_cvt_f32_f64_e32 v6, v[6:7]
	v_mul_f32_e32 v7, v9, v18
	v_fma_f32 v7, v8, v19, -v7
	v_cvt_f64_f32_e32 v[7:8], v7
	v_mul_f64 v[7:8], v[7:8], s[2:3]
	v_cvt_f32_f64_e32 v7, v[7:8]
	v_add_co_u32_e32 v8, vcc, s5, v4
	v_mov_b32_e32 v4, s4
	v_addc_co_u32_e32 v9, vcc, v5, v4, vcc
	global_store_dwordx2 v[8:9], v[6:7], off
	ds_read2_b64 v[4:7], v253 offset0:110 offset1:191
	buffer_load_dword v14, off, s[24:27], 0 offset:136 ; 4-byte Folded Reload
	buffer_load_dword v15, off, s[24:27], 0 offset:140 ; 4-byte Folded Reload
	ds_read2_b64 v[22:25], v252 offset0:50 offset1:131
	s_waitcnt vmcnt(0) lgkmcnt(1)
	v_mul_f32_e32 v10, v15, v7
	v_fmac_f32_e32 v10, v14, v6
	v_mul_f32_e32 v6, v15, v6
	v_fma_f32 v6, v14, v7, -v6
	v_cvt_f64_f32_e32 v[10:11], v10
	v_cvt_f64_f32_e32 v[6:7], v6
	v_mul_f64 v[10:11], v[10:11], s[2:3]
	v_mul_f64 v[6:7], v[6:7], s[2:3]
	v_cvt_f32_f64_e32 v10, v[10:11]
	v_cvt_f32_f64_e32 v11, v[6:7]
	v_add_co_u32_e32 v6, vcc, s5, v8
	v_mov_b32_e32 v7, s4
	v_addc_co_u32_e32 v7, vcc, v9, v7, vcc
	global_store_dwordx2 v[6:7], v[10:11], off
	buffer_load_dword v9, off, s[24:27], 0 offset:96 ; 4-byte Folded Reload
	s_nop 0
	buffer_load_dword v10, off, s[24:27], 0 offset:100 ; 4-byte Folded Reload
	s_waitcnt vmcnt(0) lgkmcnt(0)
	v_mul_f32_e32 v8, v10, v23
	v_fmac_f32_e32 v8, v9, v22
	v_mov_b32_e32 v11, v10
	v_mov_b32_e32 v10, v9
	v_cvt_f64_f32_e32 v[8:9], v8
	v_mul_f64 v[8:9], v[8:9], s[2:3]
	v_cvt_f32_f64_e32 v8, v[8:9]
	v_mul_f32_e32 v9, v11, v22
	v_fma_f32 v9, v10, v23, -v9
	v_cvt_f64_f32_e32 v[9:10], v9
	v_mul_f64 v[9:10], v[9:10], s[2:3]
	v_cvt_f32_f64_e32 v9, v[9:10]
	v_add_co_u32_e32 v10, vcc, s5, v6
	v_mov_b32_e32 v6, s4
	v_addc_co_u32_e32 v11, vcc, v7, v6, vcc
	global_store_dwordx2 v[10:11], v[8:9], off
	ds_read2_b64 v[6:9], v233 offset0:84 offset1:165
	buffer_load_dword v18, off, s[24:27], 0 offset:80 ; 4-byte Folded Reload
	buffer_load_dword v19, off, s[24:27], 0 offset:84 ; 4-byte Folded Reload
	ds_read2_b64 v[26:29], v228 offset0:152 offset1:233
	s_waitcnt vmcnt(0) lgkmcnt(1)
	v_mul_f32_e32 v14, v19, v9
	v_fmac_f32_e32 v14, v18, v8
	v_mul_f32_e32 v8, v19, v8
	v_fma_f32 v8, v18, v9, -v8
	v_cvt_f64_f32_e32 v[14:15], v14
	v_cvt_f64_f32_e32 v[8:9], v8
	v_mul_f64 v[14:15], v[14:15], s[2:3]
	v_mul_f64 v[8:9], v[8:9], s[2:3]
	v_cvt_f32_f64_e32 v14, v[14:15]
	v_cvt_f32_f64_e32 v15, v[8:9]
	v_add_co_u32_e32 v8, vcc, s5, v10
	v_mov_b32_e32 v9, s4
	v_addc_co_u32_e32 v9, vcc, v11, v9, vcc
	global_store_dwordx2 v[8:9], v[14:15], off
	buffer_load_dword v14, off, s[24:27], 0 offset:56 ; 4-byte Folded Reload
	s_nop 0
	buffer_load_dword v15, off, s[24:27], 0 offset:60 ; 4-byte Folded Reload
	s_waitcnt vmcnt(0) lgkmcnt(0)
	v_mul_f32_e32 v10, v15, v27
	v_fmac_f32_e32 v10, v14, v26
	v_cvt_f64_f32_e32 v[10:11], v10
	v_mul_f64 v[10:11], v[10:11], s[2:3]
	v_cvt_f32_f64_e32 v10, v[10:11]
	v_mul_f32_e32 v11, v15, v26
	v_fma_f32 v11, v14, v27, -v11
	v_cvt_f64_f32_e32 v[14:15], v11
	v_mul_f64 v[14:15], v[14:15], s[2:3]
	v_cvt_f32_f64_e32 v11, v[14:15]
	v_add_co_u32_e32 v14, vcc, s5, v8
	v_mov_b32_e32 v8, s4
	v_addc_co_u32_e32 v15, vcc, v9, v8, vcc
	global_store_dwordx2 v[14:15], v[10:11], off
	ds_read2_b64 v[8:11], v254 offset0:58 offset1:139
	buffer_load_dword v22, off, s[24:27], 0 offset:40 ; 4-byte Folded Reload
	buffer_load_dword v23, off, s[24:27], 0 offset:44 ; 4-byte Folded Reload
	s_waitcnt vmcnt(0) lgkmcnt(0)
	v_mul_f32_e32 v18, v23, v11
	v_fmac_f32_e32 v18, v22, v10
	v_mul_f32_e32 v10, v23, v10
	v_fma_f32 v10, v22, v11, -v10
	v_cvt_f64_f32_e32 v[18:19], v18
	v_cvt_f64_f32_e32 v[10:11], v10
	v_mul_f64 v[18:19], v[18:19], s[2:3]
	v_mul_f64 v[10:11], v[10:11], s[2:3]
	v_cvt_f32_f64_e32 v18, v[18:19]
	v_cvt_f32_f64_e32 v19, v[10:11]
	v_add_co_u32_e32 v10, vcc, s5, v14
	v_mov_b32_e32 v11, s4
	v_addc_co_u32_e32 v11, vcc, v15, v11, vcc
	global_store_dwordx2 v[10:11], v[18:19], off
	buffer_load_dword v18, off, s[24:27], 0 offset:144 ; 4-byte Folded Reload
	s_nop 0
	buffer_load_dword v19, off, s[24:27], 0 offset:148 ; 4-byte Folded Reload
	s_waitcnt vmcnt(0)
	v_mul_f32_e32 v14, v19, v13
	v_fmac_f32_e32 v14, v18, v12
	v_mul_f32_e32 v12, v19, v12
	v_fma_f32 v12, v18, v13, -v12
	v_cvt_f64_f32_e32 v[14:15], v14
	v_cvt_f64_f32_e32 v[12:13], v12
	v_mad_u64_u32 v[18:19], s[6:7], s0, v30, v[10:11]
	v_mul_f64 v[14:15], v[14:15], s[2:3]
	v_mul_f64 v[12:13], v[12:13], s[2:3]
	v_add_u32_e32 v19, s1, v19
	v_cvt_f32_f64_e32 v14, v[14:15]
	v_cvt_f32_f64_e32 v15, v[12:13]
	ds_read2_b64 v[10:13], v251 offset0:68 offset1:149
	global_store_dwordx2 v[18:19], v[14:15], off
	buffer_load_dword v22, off, s[24:27], 0 offset:112 ; 4-byte Folded Reload
	buffer_load_dword v23, off, s[24:27], 0 offset:116 ; 4-byte Folded Reload
	s_waitcnt vmcnt(0) lgkmcnt(0)
	v_mul_f32_e32 v14, v23, v11
	v_fmac_f32_e32 v14, v22, v10
	v_mul_f32_e32 v10, v23, v10
	v_fma_f32 v10, v22, v11, -v10
	v_cvt_f64_f32_e32 v[14:15], v14
	v_cvt_f64_f32_e32 v[10:11], v10
	v_mul_f64 v[14:15], v[14:15], s[2:3]
	v_mul_f64 v[10:11], v[10:11], s[2:3]
	v_cvt_f32_f64_e32 v14, v[14:15]
	v_cvt_f32_f64_e32 v15, v[10:11]
	v_add_co_u32_e32 v10, vcc, s5, v18
	v_mov_b32_e32 v11, s4
	v_addc_co_u32_e32 v11, vcc, v19, v11, vcc
	global_store_dwordx2 v[10:11], v[14:15], off
	buffer_load_dword v18, off, s[24:27], 0 offset:88 ; 4-byte Folded Reload
	buffer_load_dword v19, off, s[24:27], 0 offset:92 ; 4-byte Folded Reload
	v_add_co_u32_e32 v10, vcc, s5, v10
	s_waitcnt vmcnt(0)
	v_mul_f32_e32 v14, v19, v17
	v_fmac_f32_e32 v14, v18, v16
	v_cvt_f64_f32_e32 v[14:15], v14
	v_mul_f64 v[14:15], v[14:15], s[2:3]
	v_cvt_f32_f64_e32 v14, v[14:15]
	v_mul_f32_e32 v15, v19, v16
	v_fma_f32 v15, v18, v17, -v15
	v_cvt_f64_f32_e32 v[15:16], v15
	v_mul_f64 v[15:16], v[15:16], s[2:3]
	v_cvt_f32_f64_e32 v15, v[15:16]
	v_mov_b32_e32 v16, s4
	v_addc_co_u32_e32 v11, vcc, v11, v16, vcc
	global_store_dwordx2 v[10:11], v[14:15], off
	ds_read2_b64 v[14:17], v246 offset0:42 offset1:123
	buffer_load_dword v22, off, s[24:27], 0 offset:72 ; 4-byte Folded Reload
	buffer_load_dword v23, off, s[24:27], 0 offset:76 ; 4-byte Folded Reload
	v_add_co_u32_e32 v10, vcc, s5, v10
	s_waitcnt vmcnt(0) lgkmcnt(0)
	v_mul_f32_e32 v18, v23, v15
	v_fmac_f32_e32 v18, v22, v14
	v_mul_f32_e32 v14, v23, v14
	v_fma_f32 v14, v22, v15, -v14
	v_cvt_f64_f32_e32 v[18:19], v18
	v_cvt_f64_f32_e32 v[14:15], v14
	v_mul_f64 v[18:19], v[18:19], s[2:3]
	v_mul_f64 v[14:15], v[14:15], s[2:3]
	v_cvt_f32_f64_e32 v18, v[18:19]
	v_cvt_f32_f64_e32 v19, v[14:15]
	v_mov_b32_e32 v14, s4
	v_addc_co_u32_e32 v11, vcc, v11, v14, vcc
	global_store_dwordx2 v[10:11], v[18:19], off
	buffer_load_dword v18, off, s[24:27], 0 offset:48 ; 4-byte Folded Reload
	s_nop 0
	buffer_load_dword v19, off, s[24:27], 0 offset:52 ; 4-byte Folded Reload
	v_add_co_u32_e32 v10, vcc, s5, v10
	s_waitcnt vmcnt(0)
	v_mul_f32_e32 v14, v19, v21
	v_fmac_f32_e32 v14, v18, v20
	v_cvt_f64_f32_e32 v[14:15], v14
	v_mul_f64 v[14:15], v[14:15], s[2:3]
	v_cvt_f32_f64_e32 v14, v[14:15]
	v_mul_f32_e32 v15, v19, v20
	v_fma_f32 v15, v18, v21, -v15
	v_cvt_f64_f32_e32 v[18:19], v15
	v_mul_f64 v[18:19], v[18:19], s[2:3]
	v_cvt_f32_f64_e32 v15, v[18:19]
	v_mov_b32_e32 v18, s4
	v_addc_co_u32_e32 v11, vcc, v11, v18, vcc
	global_store_dwordx2 v[10:11], v[14:15], off
	ds_read2_b64 v[18:21], v230 offset0:16 offset1:97
	buffer_load_dword v22, off, s[24:27], 0 offset:32 ; 4-byte Folded Reload
	buffer_load_dword v23, off, s[24:27], 0 offset:36 ; 4-byte Folded Reload
	v_add_co_u32_e32 v10, vcc, s5, v10
	s_waitcnt vmcnt(0) lgkmcnt(0)
	v_mul_f32_e32 v14, v23, v19
	v_fmac_f32_e32 v14, v22, v18
	v_cvt_f64_f32_e32 v[14:15], v14
	v_mul_f64 v[14:15], v[14:15], s[2:3]
	v_cvt_f32_f64_e32 v14, v[14:15]
	v_mul_f32_e32 v15, v23, v18
	v_fma_f32 v15, v22, v19, -v15
	v_cvt_f64_f32_e32 v[18:19], v15
	v_mul_f64 v[18:19], v[18:19], s[2:3]
	v_cvt_f32_f64_e32 v15, v[18:19]
	v_mov_b32_e32 v18, s4
	v_addc_co_u32_e32 v11, vcc, v11, v18, vcc
	global_store_dwordx2 v[10:11], v[14:15], off
	buffer_load_dword v18, off, s[24:27], 0 offset:24 ; 4-byte Folded Reload
	buffer_load_dword v19, off, s[24:27], 0 offset:28 ; 4-byte Folded Reload
	v_add_co_u32_e32 v10, vcc, s5, v10
	s_waitcnt vmcnt(0)
	v_mul_f32_e32 v14, v19, v25
	v_fmac_f32_e32 v14, v18, v24
	v_cvt_f64_f32_e32 v[14:15], v14
	v_mul_f64 v[14:15], v[14:15], s[2:3]
	v_cvt_f32_f64_e32 v14, v[14:15]
	v_mul_f32_e32 v15, v19, v24
	v_fma_f32 v15, v18, v25, -v15
	v_cvt_f64_f32_e32 v[18:19], v15
	ds_read2_b64 v[22:25], v231 offset0:118 offset1:199
	v_mul_f64 v[18:19], v[18:19], s[2:3]
	v_cvt_f32_f64_e32 v15, v[18:19]
	v_mov_b32_e32 v18, s4
	v_addc_co_u32_e32 v11, vcc, v11, v18, vcc
	global_store_dwordx2 v[10:11], v[14:15], off
	buffer_load_dword v18, off, s[24:27], 0 offset:16 ; 4-byte Folded Reload
	buffer_load_dword v19, off, s[24:27], 0 offset:20 ; 4-byte Folded Reload
	v_add_co_u32_e32 v10, vcc, s5, v10
	s_waitcnt vmcnt(0) lgkmcnt(0)
	v_mul_f32_e32 v14, v19, v23
	v_fmac_f32_e32 v14, v18, v22
	v_cvt_f64_f32_e32 v[14:15], v14
	v_mul_f64 v[14:15], v[14:15], s[2:3]
	v_cvt_f32_f64_e32 v14, v[14:15]
	v_mul_f32_e32 v15, v19, v22
	v_fma_f32 v15, v18, v23, -v15
	v_cvt_f64_f32_e32 v[18:19], v15
	v_mul_f64 v[18:19], v[18:19], s[2:3]
	v_cvt_f32_f64_e32 v15, v[18:19]
	v_mov_b32_e32 v18, s4
	v_addc_co_u32_e32 v11, vcc, v11, v18, vcc
	global_store_dwordx2 v[10:11], v[14:15], off
	buffer_load_dword v18, off, s[24:27], 0 offset:8 ; 4-byte Folded Reload
	buffer_load_dword v19, off, s[24:27], 0 offset:12 ; 4-byte Folded Reload
	v_add_co_u32_e32 v10, vcc, s5, v10
	s_waitcnt vmcnt(0)
	v_mul_f32_e32 v14, v19, v29
	v_fmac_f32_e32 v14, v18, v28
	v_cvt_f64_f32_e32 v[14:15], v14
	v_mul_f64 v[14:15], v[14:15], s[2:3]
	v_cvt_f32_f64_e32 v14, v[14:15]
	v_mul_f32_e32 v15, v19, v28
	v_fma_f32 v15, v18, v29, -v15
	v_cvt_f64_f32_e32 v[18:19], v15
	ds_read2_b64 v[26:29], v229 offset0:92 offset1:173
	v_mul_f64 v[18:19], v[18:19], s[2:3]
	v_cvt_f32_f64_e32 v15, v[18:19]
	v_mov_b32_e32 v18, s4
	v_addc_co_u32_e32 v11, vcc, v11, v18, vcc
	global_store_dwordx2 v[10:11], v[14:15], off
	buffer_load_dword v18, off, s[24:27], 0 ; 4-byte Folded Reload
	buffer_load_dword v19, off, s[24:27], 0 offset:4 ; 4-byte Folded Reload
	v_add_co_u32_e32 v10, vcc, s5, v10
	s_waitcnt vmcnt(0) lgkmcnt(0)
	v_mul_f32_e32 v14, v19, v27
	v_fmac_f32_e32 v14, v18, v26
	v_cvt_f64_f32_e32 v[14:15], v14
	v_mul_f64 v[14:15], v[14:15], s[2:3]
	v_cvt_f32_f64_e32 v14, v[14:15]
	v_mul_f32_e32 v15, v19, v26
	v_fma_f32 v15, v18, v27, -v15
	v_cvt_f64_f32_e32 v[18:19], v15
	v_mul_f64 v[18:19], v[18:19], s[2:3]
	v_cvt_f32_f64_e32 v15, v[18:19]
	v_mov_b32_e32 v18, s4
	v_addc_co_u32_e32 v11, vcc, v11, v18, vcc
	global_store_dwordx2 v[10:11], v[14:15], off
	buffer_load_dword v18, off, s[24:27], 0 offset:64 ; 4-byte Folded Reload
	buffer_load_dword v19, off, s[24:27], 0 offset:68 ; 4-byte Folded Reload
	s_waitcnt vmcnt(0)
	v_mul_f32_e32 v14, v19, v1
	v_fmac_f32_e32 v14, v18, v0
	v_mul_f32_e32 v0, v19, v0
	v_fma_f32 v0, v18, v1, -v0
	v_cvt_f64_f32_e32 v[14:15], v14
	v_cvt_f64_f32_e32 v[0:1], v0
	v_mul_f64 v[14:15], v[14:15], s[2:3]
	v_mul_f64 v[0:1], v[0:1], s[2:3]
	v_cvt_f32_f64_e32 v14, v[14:15]
	v_cvt_f32_f64_e32 v15, v[0:1]
	v_mad_u64_u32 v[0:1], s[6:7], s0, v30, v[10:11]
	v_add_u32_e32 v1, s1, v1
	global_store_dwordx2 v[0:1], v[14:15], off
	buffer_load_dword v14, off, s[24:27], 0 offset:104 ; 4-byte Folded Reload
	s_nop 0
	buffer_load_dword v15, off, s[24:27], 0 offset:108 ; 4-byte Folded Reload
	v_add_co_u32_e32 v0, vcc, s5, v0
	s_waitcnt vmcnt(0)
	v_mul_f32_e32 v10, v15, v13
	v_fmac_f32_e32 v10, v14, v12
	v_cvt_f64_f32_e32 v[10:11], v10
	v_mul_f64 v[10:11], v[10:11], s[2:3]
	v_cvt_f32_f64_e32 v10, v[10:11]
	v_mul_f32_e32 v11, v15, v12
	v_fma_f32 v11, v14, v13, -v11
	v_cvt_f64_f32_e32 v[11:12], v11
	v_mul_f64 v[11:12], v[11:12], s[2:3]
	v_cvt_f32_f64_e32 v11, v[11:12]
	v_mov_b32_e32 v12, s4
	v_addc_co_u32_e32 v1, vcc, v1, v12, vcc
	global_store_dwordx2 v[0:1], v[10:11], off
	buffer_load_dword v11, off, s[24:27], 0 offset:120 ; 4-byte Folded Reload
	s_nop 0
	buffer_load_dword v12, off, s[24:27], 0 offset:124 ; 4-byte Folded Reload
	v_add_co_u32_e32 v0, vcc, s5, v0
	s_waitcnt vmcnt(0)
	v_mul_f32_e32 v10, v12, v3
	v_mov_b32_e32 v13, v12
	v_fmac_f32_e32 v10, v11, v2
	v_mov_b32_e32 v12, v11
	v_mul_f32_e32 v2, v13, v2
	v_fma_f32 v2, v12, v3, -v2
	v_cvt_f64_f32_e32 v[10:11], v10
	v_cvt_f64_f32_e32 v[2:3], v2
	v_mul_f64 v[10:11], v[10:11], s[2:3]
	v_mul_f64 v[2:3], v[2:3], s[2:3]
	v_cvt_f32_f64_e32 v10, v[10:11]
	v_cvt_f32_f64_e32 v11, v[2:3]
	v_mov_b32_e32 v2, s4
	v_addc_co_u32_e32 v1, vcc, v1, v2, vcc
	global_store_dwordx2 v[0:1], v[10:11], off
	buffer_load_dword v10, off, s[24:27], 0 offset:160 ; 4-byte Folded Reload
	s_nop 0
	buffer_load_dword v11, off, s[24:27], 0 offset:164 ; 4-byte Folded Reload
	v_add_co_u32_e32 v0, vcc, s5, v0
	s_waitcnt vmcnt(0)
	v_mul_f32_e32 v2, v11, v17
	v_fmac_f32_e32 v2, v10, v16
	v_cvt_f64_f32_e32 v[2:3], v2
	v_mul_f64 v[2:3], v[2:3], s[2:3]
	v_cvt_f32_f64_e32 v2, v[2:3]
	v_mul_f32_e32 v3, v11, v16
	v_fma_f32 v3, v10, v17, -v3
	v_cvt_f64_f32_e32 v[10:11], v3
	v_mul_f64 v[10:11], v[10:11], s[2:3]
	v_cvt_f32_f64_e32 v3, v[10:11]
	v_mov_b32_e32 v10, s4
	v_addc_co_u32_e32 v1, vcc, v1, v10, vcc
	global_store_dwordx2 v[0:1], v[2:3], off
	buffer_load_dword v10, off, s[24:27], 0 offset:152 ; 4-byte Folded Reload
	buffer_load_dword v11, off, s[24:27], 0 offset:156 ; 4-byte Folded Reload
	v_add_co_u32_e32 v0, vcc, s5, v0
	s_waitcnt vmcnt(0)
	v_mul_f32_e32 v2, v11, v5
	v_fmac_f32_e32 v2, v10, v4
	v_cvt_f64_f32_e32 v[2:3], v2
	v_mul_f64 v[2:3], v[2:3], s[2:3]
	v_cvt_f32_f64_e32 v2, v[2:3]
	v_mul_f32_e32 v3, v11, v4
	v_fma_f32 v3, v10, v5, -v3
	v_cvt_f64_f32_e32 v[3:4], v3
	v_mul_f64 v[3:4], v[3:4], s[2:3]
	v_cvt_f32_f64_e32 v3, v[3:4]
	v_mov_b32_e32 v4, s4
	v_addc_co_u32_e32 v1, vcc, v1, v4, vcc
	global_store_dwordx2 v[0:1], v[2:3], off
	buffer_load_dword v3, off, s[24:27], 0 offset:168 ; 4-byte Folded Reload
	s_nop 0
	buffer_load_dword v4, off, s[24:27], 0 offset:172 ; 4-byte Folded Reload
	v_add_co_u32_e32 v0, vcc, s5, v0
	s_waitcnt vmcnt(0)
	v_mul_f32_e32 v2, v4, v21
	v_fmac_f32_e32 v2, v3, v20
	v_mov_b32_e32 v5, v4
	v_mov_b32_e32 v4, v3
	v_cvt_f64_f32_e32 v[2:3], v2
	v_mul_f64 v[2:3], v[2:3], s[2:3]
	v_cvt_f32_f64_e32 v2, v[2:3]
	v_mul_f32_e32 v3, v5, v20
	v_fma_f32 v3, v4, v21, -v3
	v_cvt_f64_f32_e32 v[3:4], v3
	v_mul_f64 v[3:4], v[3:4], s[2:3]
	v_cvt_f32_f64_e32 v3, v[3:4]
	v_mov_b32_e32 v4, s4
	v_addc_co_u32_e32 v1, vcc, v1, v4, vcc
	global_store_dwordx2 v[0:1], v[2:3], off
	buffer_load_dword v3, off, s[24:27], 0 offset:176 ; 4-byte Folded Reload
	s_nop 0
	buffer_load_dword v4, off, s[24:27], 0 offset:180 ; 4-byte Folded Reload
	v_add_co_u32_e32 v0, vcc, s5, v0
	s_waitcnt vmcnt(0)
	v_mul_f32_e32 v2, v4, v7
	v_fmac_f32_e32 v2, v3, v6
	v_mov_b32_e32 v5, v4
	v_mov_b32_e32 v4, v3
	;; [unrolled: 20-line block ×5, first 2 shown]
	v_cvt_f64_f32_e32 v[2:3], v2
	v_mul_f64 v[2:3], v[2:3], s[2:3]
	v_cvt_f32_f64_e32 v2, v[2:3]
	v_mul_f32_e32 v3, v5, v28
	v_fma_f32 v3, v4, v29, -v3
	v_cvt_f64_f32_e32 v[3:4], v3
	v_mul_f64 v[3:4], v[3:4], s[2:3]
	v_cvt_f32_f64_e32 v3, v[3:4]
	v_mov_b32_e32 v4, s4
	v_addc_co_u32_e32 v1, vcc, v1, v4, vcc
	global_store_dwordx2 v[0:1], v[2:3], off
.LBB0_2:
	s_endpgm
	.section	.rodata,"a",@progbits
	.p2align	6, 0x0
	.amdhsa_kernel bluestein_single_back_len2430_dim1_sp_op_CI_CI
		.amdhsa_group_segment_fixed_size 19440
		.amdhsa_private_segment_fixed_size 516
		.amdhsa_kernarg_size 104
		.amdhsa_user_sgpr_count 6
		.amdhsa_user_sgpr_private_segment_buffer 1
		.amdhsa_user_sgpr_dispatch_ptr 0
		.amdhsa_user_sgpr_queue_ptr 0
		.amdhsa_user_sgpr_kernarg_segment_ptr 1
		.amdhsa_user_sgpr_dispatch_id 0
		.amdhsa_user_sgpr_flat_scratch_init 0
		.amdhsa_user_sgpr_private_segment_size 0
		.amdhsa_uses_dynamic_stack 0
		.amdhsa_system_sgpr_private_segment_wavefront_offset 1
		.amdhsa_system_sgpr_workgroup_id_x 1
		.amdhsa_system_sgpr_workgroup_id_y 0
		.amdhsa_system_sgpr_workgroup_id_z 0
		.amdhsa_system_sgpr_workgroup_info 0
		.amdhsa_system_vgpr_workitem_id 0
		.amdhsa_next_free_vgpr 256
		.amdhsa_next_free_sgpr 28
		.amdhsa_reserve_vcc 1
		.amdhsa_reserve_flat_scratch 0
		.amdhsa_float_round_mode_32 0
		.amdhsa_float_round_mode_16_64 0
		.amdhsa_float_denorm_mode_32 3
		.amdhsa_float_denorm_mode_16_64 3
		.amdhsa_dx10_clamp 1
		.amdhsa_ieee_mode 1
		.amdhsa_fp16_overflow 0
		.amdhsa_exception_fp_ieee_invalid_op 0
		.amdhsa_exception_fp_denorm_src 0
		.amdhsa_exception_fp_ieee_div_zero 0
		.amdhsa_exception_fp_ieee_overflow 0
		.amdhsa_exception_fp_ieee_underflow 0
		.amdhsa_exception_fp_ieee_inexact 0
		.amdhsa_exception_int_div_zero 0
	.end_amdhsa_kernel
	.text
.Lfunc_end0:
	.size	bluestein_single_back_len2430_dim1_sp_op_CI_CI, .Lfunc_end0-bluestein_single_back_len2430_dim1_sp_op_CI_CI
                                        ; -- End function
	.section	.AMDGPU.csdata,"",@progbits
; Kernel info:
; codeLenInByte = 33276
; NumSgprs: 32
; NumVgprs: 256
; ScratchSize: 516
; MemoryBound: 0
; FloatMode: 240
; IeeeMode: 1
; LDSByteSize: 19440 bytes/workgroup (compile time only)
; SGPRBlocks: 3
; VGPRBlocks: 63
; NumSGPRsForWavesPerEU: 32
; NumVGPRsForWavesPerEU: 256
; Occupancy: 1
; WaveLimiterHint : 1
; COMPUTE_PGM_RSRC2:SCRATCH_EN: 1
; COMPUTE_PGM_RSRC2:USER_SGPR: 6
; COMPUTE_PGM_RSRC2:TRAP_HANDLER: 0
; COMPUTE_PGM_RSRC2:TGID_X_EN: 1
; COMPUTE_PGM_RSRC2:TGID_Y_EN: 0
; COMPUTE_PGM_RSRC2:TGID_Z_EN: 0
; COMPUTE_PGM_RSRC2:TIDIG_COMP_CNT: 0
	.type	__hip_cuid_9ca2012cdc614c80,@object ; @__hip_cuid_9ca2012cdc614c80
	.section	.bss,"aw",@nobits
	.globl	__hip_cuid_9ca2012cdc614c80
__hip_cuid_9ca2012cdc614c80:
	.byte	0                               ; 0x0
	.size	__hip_cuid_9ca2012cdc614c80, 1

	.ident	"AMD clang version 19.0.0git (https://github.com/RadeonOpenCompute/llvm-project roc-6.4.0 25133 c7fe45cf4b819c5991fe208aaa96edf142730f1d)"
	.section	".note.GNU-stack","",@progbits
	.addrsig
	.addrsig_sym __hip_cuid_9ca2012cdc614c80
	.amdgpu_metadata
---
amdhsa.kernels:
  - .args:
      - .actual_access:  read_only
        .address_space:  global
        .offset:         0
        .size:           8
        .value_kind:     global_buffer
      - .actual_access:  read_only
        .address_space:  global
        .offset:         8
        .size:           8
        .value_kind:     global_buffer
      - .actual_access:  read_only
        .address_space:  global
        .offset:         16
        .size:           8
        .value_kind:     global_buffer
      - .actual_access:  read_only
        .address_space:  global
        .offset:         24
        .size:           8
        .value_kind:     global_buffer
      - .actual_access:  read_only
        .address_space:  global
        .offset:         32
        .size:           8
        .value_kind:     global_buffer
      - .offset:         40
        .size:           8
        .value_kind:     by_value
      - .address_space:  global
        .offset:         48
        .size:           8
        .value_kind:     global_buffer
      - .address_space:  global
        .offset:         56
        .size:           8
        .value_kind:     global_buffer
      - .address_space:  global
        .offset:         64
        .size:           8
        .value_kind:     global_buffer
      - .address_space:  global
        .offset:         72
        .size:           8
        .value_kind:     global_buffer
      - .offset:         80
        .size:           4
        .value_kind:     by_value
      - .address_space:  global
        .offset:         88
        .size:           8
        .value_kind:     global_buffer
      - .address_space:  global
        .offset:         96
        .size:           8
        .value_kind:     global_buffer
    .group_segment_fixed_size: 19440
    .kernarg_segment_align: 8
    .kernarg_segment_size: 104
    .language:       OpenCL C
    .language_version:
      - 2
      - 0
    .max_flat_workgroup_size: 81
    .name:           bluestein_single_back_len2430_dim1_sp_op_CI_CI
    .private_segment_fixed_size: 516
    .sgpr_count:     32
    .sgpr_spill_count: 0
    .symbol:         bluestein_single_back_len2430_dim1_sp_op_CI_CI.kd
    .uniform_work_group_size: 1
    .uses_dynamic_stack: false
    .vgpr_count:     256
    .vgpr_spill_count: 128
    .wavefront_size: 64
amdhsa.target:   amdgcn-amd-amdhsa--gfx906
amdhsa.version:
  - 1
  - 2
...

	.end_amdgpu_metadata
